;; amdgpu-corpus repo=ROCm/rocFFT kind=compiled arch=gfx906 opt=O3
	.text
	.amdgcn_target "amdgcn-amd-amdhsa--gfx906"
	.amdhsa_code_object_version 6
	.protected	fft_rtc_back_len1400_factors_2_2_2_5_7_5_wgs_56_tpt_56_halfLds_dp_ip_CI_unitstride_sbrr_dirReg ; -- Begin function fft_rtc_back_len1400_factors_2_2_2_5_7_5_wgs_56_tpt_56_halfLds_dp_ip_CI_unitstride_sbrr_dirReg
	.globl	fft_rtc_back_len1400_factors_2_2_2_5_7_5_wgs_56_tpt_56_halfLds_dp_ip_CI_unitstride_sbrr_dirReg
	.p2align	8
	.type	fft_rtc_back_len1400_factors_2_2_2_5_7_5_wgs_56_tpt_56_halfLds_dp_ip_CI_unitstride_sbrr_dirReg,@function
fft_rtc_back_len1400_factors_2_2_2_5_7_5_wgs_56_tpt_56_halfLds_dp_ip_CI_unitstride_sbrr_dirReg: ; @fft_rtc_back_len1400_factors_2_2_2_5_7_5_wgs_56_tpt_56_halfLds_dp_ip_CI_unitstride_sbrr_dirReg
; %bb.0:
	s_load_dwordx2 s[12:13], s[4:5], 0x50
	s_load_dwordx4 s[8:11], s[4:5], 0x0
	s_load_dwordx2 s[2:3], s[4:5], 0x18
	v_mul_u32_u24_e32 v1, 0x493, v0
	v_add_u32_sdwa v5, s6, v1 dst_sel:DWORD dst_unused:UNUSED_PAD src0_sel:DWORD src1_sel:WORD_1
	v_mov_b32_e32 v3, 0
	s_waitcnt lgkmcnt(0)
	v_cmp_lt_u64_e64 s[0:1], s[10:11], 2
	v_mov_b32_e32 v1, 0
	v_mov_b32_e32 v6, v3
	s_and_b64 vcc, exec, s[0:1]
	v_mov_b32_e32 v2, 0
	s_cbranch_vccnz .LBB0_8
; %bb.1:
	s_load_dwordx2 s[0:1], s[4:5], 0x10
	s_add_u32 s6, s2, 8
	s_addc_u32 s7, s3, 0
	v_mov_b32_e32 v1, 0
	v_mov_b32_e32 v2, 0
	s_waitcnt lgkmcnt(0)
	s_add_u32 s14, s0, 8
	s_addc_u32 s15, s1, 0
	s_mov_b64 s[16:17], 1
.LBB0_2:                                ; =>This Inner Loop Header: Depth=1
	s_load_dwordx2 s[18:19], s[14:15], 0x0
                                        ; implicit-def: $vgpr7_vgpr8
	s_waitcnt lgkmcnt(0)
	v_or_b32_e32 v4, s19, v6
	v_cmp_ne_u64_e32 vcc, 0, v[3:4]
	s_and_saveexec_b64 s[0:1], vcc
	s_xor_b64 s[20:21], exec, s[0:1]
	s_cbranch_execz .LBB0_4
; %bb.3:                                ;   in Loop: Header=BB0_2 Depth=1
	v_cvt_f32_u32_e32 v4, s18
	v_cvt_f32_u32_e32 v7, s19
	s_sub_u32 s0, 0, s18
	s_subb_u32 s1, 0, s19
	v_mac_f32_e32 v4, 0x4f800000, v7
	v_rcp_f32_e32 v4, v4
	v_mul_f32_e32 v4, 0x5f7ffffc, v4
	v_mul_f32_e32 v7, 0x2f800000, v4
	v_trunc_f32_e32 v7, v7
	v_mac_f32_e32 v4, 0xcf800000, v7
	v_cvt_u32_f32_e32 v7, v7
	v_cvt_u32_f32_e32 v4, v4
	v_mul_lo_u32 v8, s0, v7
	v_mul_hi_u32 v9, s0, v4
	v_mul_lo_u32 v11, s1, v4
	v_mul_lo_u32 v10, s0, v4
	v_add_u32_e32 v8, v9, v8
	v_add_u32_e32 v8, v8, v11
	v_mul_hi_u32 v9, v4, v10
	v_mul_lo_u32 v11, v4, v8
	v_mul_hi_u32 v13, v4, v8
	v_mul_hi_u32 v12, v7, v10
	v_mul_lo_u32 v10, v7, v10
	v_mul_hi_u32 v14, v7, v8
	v_add_co_u32_e32 v9, vcc, v9, v11
	v_addc_co_u32_e32 v11, vcc, 0, v13, vcc
	v_mul_lo_u32 v8, v7, v8
	v_add_co_u32_e32 v9, vcc, v9, v10
	v_addc_co_u32_e32 v9, vcc, v11, v12, vcc
	v_addc_co_u32_e32 v10, vcc, 0, v14, vcc
	v_add_co_u32_e32 v8, vcc, v9, v8
	v_addc_co_u32_e32 v9, vcc, 0, v10, vcc
	v_add_co_u32_e32 v4, vcc, v4, v8
	v_addc_co_u32_e32 v7, vcc, v7, v9, vcc
	v_mul_lo_u32 v8, s0, v7
	v_mul_hi_u32 v9, s0, v4
	v_mul_lo_u32 v10, s1, v4
	v_mul_lo_u32 v11, s0, v4
	v_add_u32_e32 v8, v9, v8
	v_add_u32_e32 v8, v8, v10
	v_mul_lo_u32 v12, v4, v8
	v_mul_hi_u32 v13, v4, v11
	v_mul_hi_u32 v14, v4, v8
	;; [unrolled: 1-line block ×3, first 2 shown]
	v_mul_lo_u32 v11, v7, v11
	v_mul_hi_u32 v9, v7, v8
	v_add_co_u32_e32 v12, vcc, v13, v12
	v_addc_co_u32_e32 v13, vcc, 0, v14, vcc
	v_mul_lo_u32 v8, v7, v8
	v_add_co_u32_e32 v11, vcc, v12, v11
	v_addc_co_u32_e32 v10, vcc, v13, v10, vcc
	v_addc_co_u32_e32 v9, vcc, 0, v9, vcc
	v_add_co_u32_e32 v8, vcc, v10, v8
	v_addc_co_u32_e32 v9, vcc, 0, v9, vcc
	v_add_co_u32_e32 v4, vcc, v4, v8
	v_addc_co_u32_e32 v9, vcc, v7, v9, vcc
	v_mad_u64_u32 v[7:8], s[0:1], v5, v9, 0
	v_mul_hi_u32 v10, v5, v4
	v_add_co_u32_e32 v11, vcc, v10, v7
	v_addc_co_u32_e32 v12, vcc, 0, v8, vcc
	v_mad_u64_u32 v[7:8], s[0:1], v6, v4, 0
	v_mad_u64_u32 v[9:10], s[0:1], v6, v9, 0
	v_add_co_u32_e32 v4, vcc, v11, v7
	v_addc_co_u32_e32 v4, vcc, v12, v8, vcc
	v_addc_co_u32_e32 v7, vcc, 0, v10, vcc
	v_add_co_u32_e32 v4, vcc, v4, v9
	v_addc_co_u32_e32 v9, vcc, 0, v7, vcc
	v_mul_lo_u32 v10, s19, v4
	v_mul_lo_u32 v11, s18, v9
	v_mad_u64_u32 v[7:8], s[0:1], s18, v4, 0
	v_add3_u32 v8, v8, v11, v10
	v_sub_u32_e32 v10, v6, v8
	v_mov_b32_e32 v11, s19
	v_sub_co_u32_e32 v7, vcc, v5, v7
	v_subb_co_u32_e64 v10, s[0:1], v10, v11, vcc
	v_subrev_co_u32_e64 v11, s[0:1], s18, v7
	v_subbrev_co_u32_e64 v10, s[0:1], 0, v10, s[0:1]
	v_cmp_le_u32_e64 s[0:1], s19, v10
	v_cndmask_b32_e64 v12, 0, -1, s[0:1]
	v_cmp_le_u32_e64 s[0:1], s18, v11
	v_cndmask_b32_e64 v11, 0, -1, s[0:1]
	v_cmp_eq_u32_e64 s[0:1], s19, v10
	v_cndmask_b32_e64 v10, v12, v11, s[0:1]
	v_add_co_u32_e64 v11, s[0:1], 2, v4
	v_addc_co_u32_e64 v12, s[0:1], 0, v9, s[0:1]
	v_add_co_u32_e64 v13, s[0:1], 1, v4
	v_addc_co_u32_e64 v14, s[0:1], 0, v9, s[0:1]
	v_subb_co_u32_e32 v8, vcc, v6, v8, vcc
	v_cmp_ne_u32_e64 s[0:1], 0, v10
	v_cmp_le_u32_e32 vcc, s19, v8
	v_cndmask_b32_e64 v10, v14, v12, s[0:1]
	v_cndmask_b32_e64 v12, 0, -1, vcc
	v_cmp_le_u32_e32 vcc, s18, v7
	v_cndmask_b32_e64 v7, 0, -1, vcc
	v_cmp_eq_u32_e32 vcc, s19, v8
	v_cndmask_b32_e32 v7, v12, v7, vcc
	v_cmp_ne_u32_e32 vcc, 0, v7
	v_cndmask_b32_e64 v7, v13, v11, s[0:1]
	v_cndmask_b32_e32 v8, v9, v10, vcc
	v_cndmask_b32_e32 v7, v4, v7, vcc
.LBB0_4:                                ;   in Loop: Header=BB0_2 Depth=1
	s_andn2_saveexec_b64 s[0:1], s[20:21]
	s_cbranch_execz .LBB0_6
; %bb.5:                                ;   in Loop: Header=BB0_2 Depth=1
	v_cvt_f32_u32_e32 v4, s18
	s_sub_i32 s20, 0, s18
	v_rcp_iflag_f32_e32 v4, v4
	v_mul_f32_e32 v4, 0x4f7ffffe, v4
	v_cvt_u32_f32_e32 v4, v4
	v_mul_lo_u32 v7, s20, v4
	v_mul_hi_u32 v7, v4, v7
	v_add_u32_e32 v4, v4, v7
	v_mul_hi_u32 v4, v5, v4
	v_mul_lo_u32 v7, v4, s18
	v_add_u32_e32 v8, 1, v4
	v_sub_u32_e32 v7, v5, v7
	v_subrev_u32_e32 v9, s18, v7
	v_cmp_le_u32_e32 vcc, s18, v7
	v_cndmask_b32_e32 v7, v7, v9, vcc
	v_cndmask_b32_e32 v4, v4, v8, vcc
	v_add_u32_e32 v8, 1, v4
	v_cmp_le_u32_e32 vcc, s18, v7
	v_cndmask_b32_e32 v7, v4, v8, vcc
	v_mov_b32_e32 v8, v3
.LBB0_6:                                ;   in Loop: Header=BB0_2 Depth=1
	s_or_b64 exec, exec, s[0:1]
	v_mul_lo_u32 v4, v8, s18
	v_mul_lo_u32 v11, v7, s19
	v_mad_u64_u32 v[9:10], s[0:1], v7, s18, 0
	s_load_dwordx2 s[0:1], s[6:7], 0x0
	s_add_u32 s16, s16, 1
	v_add3_u32 v4, v10, v11, v4
	v_sub_co_u32_e32 v5, vcc, v5, v9
	v_subb_co_u32_e32 v4, vcc, v6, v4, vcc
	s_waitcnt lgkmcnt(0)
	v_mul_lo_u32 v4, s0, v4
	v_mul_lo_u32 v6, s1, v5
	v_mad_u64_u32 v[1:2], s[0:1], s0, v5, v[1:2]
	s_addc_u32 s17, s17, 0
	s_add_u32 s6, s6, 8
	v_add3_u32 v2, v6, v2, v4
	v_mov_b32_e32 v4, s10
	v_mov_b32_e32 v5, s11
	s_addc_u32 s7, s7, 0
	v_cmp_ge_u64_e32 vcc, s[16:17], v[4:5]
	s_add_u32 s14, s14, 8
	s_addc_u32 s15, s15, 0
	s_cbranch_vccnz .LBB0_9
; %bb.7:                                ;   in Loop: Header=BB0_2 Depth=1
	v_mov_b32_e32 v5, v7
	v_mov_b32_e32 v6, v8
	s_branch .LBB0_2
.LBB0_8:
	v_mov_b32_e32 v8, v6
	v_mov_b32_e32 v7, v5
.LBB0_9:
	s_lshl_b64 s[0:1], s[10:11], 3
	s_add_u32 s0, s2, s0
	s_addc_u32 s1, s3, s1
	s_load_dwordx2 s[2:3], s[0:1], 0x0
	s_load_dwordx2 s[6:7], s[4:5], 0x20
                                        ; implicit-def: $vgpr154
	s_waitcnt lgkmcnt(0)
	v_mad_u64_u32 v[1:2], s[0:1], s2, v7, v[1:2]
	s_mov_b32 s0, 0x4924925
	v_mul_lo_u32 v3, s2, v8
	v_mul_lo_u32 v4, s3, v7
	v_mul_hi_u32 v5, v0, s0
	v_cmp_gt_u64_e64 s[0:1], s[6:7], v[7:8]
	v_cmp_le_u64_e32 vcc, s[6:7], v[7:8]
	v_add3_u32 v2, v4, v2, v3
	v_mul_u32_u24_e32 v3, 56, v5
	v_sub_u32_e32 v150, v0, v3
	s_and_saveexec_b64 s[2:3], vcc
	s_xor_b64 s[2:3], exec, s[2:3]
; %bb.10:
	v_or_b32_e32 v154, 0x1c0, v150
; %bb.11:
	s_or_saveexec_b64 s[2:3], s[2:3]
	v_lshlrev_b64 v[152:153], 4, v[1:2]
                                        ; implicit-def: $vgpr70_vgpr71
                                        ; implicit-def: $vgpr62_vgpr63
                                        ; implicit-def: $vgpr50_vgpr51
                                        ; implicit-def: $vgpr38_vgpr39
                                        ; implicit-def: $vgpr54_vgpr55
                                        ; implicit-def: $vgpr42_vgpr43
                                        ; implicit-def: $vgpr58_vgpr59
                                        ; implicit-def: $vgpr34_vgpr35
                                        ; implicit-def: $vgpr30_vgpr31
                                        ; implicit-def: $vgpr46_vgpr47
                                        ; implicit-def: $vgpr26_vgpr27
                                        ; implicit-def: $vgpr10_vgpr11
                                        ; implicit-def: $vgpr66_vgpr67
                                        ; implicit-def: $vgpr6_vgpr7
                                        ; implicit-def: $vgpr22_vgpr23
                                        ; implicit-def: $vgpr2_vgpr3
                                        ; implicit-def: $vgpr18_vgpr19
                                        ; implicit-def: $vgpr74_vgpr75
                                        ; implicit-def: $vgpr14_vgpr15
                                        ; implicit-def: $vgpr94_vgpr95
                                        ; implicit-def: $vgpr86_vgpr87
                                        ; implicit-def: $vgpr78_vgpr79
                                        ; implicit-def: $vgpr98_vgpr99
                                        ; implicit-def: $vgpr82_vgpr83
                                        ; implicit-def: $vgpr104_vgpr105
                                        ; implicit-def: $vgpr90_vgpr91
	s_xor_b64 exec, exec, s[2:3]
	s_cbranch_execz .LBB0_15
; %bb.12:
	v_mov_b32_e32 v151, 0
	v_mov_b32_e32 v0, s13
	v_add_co_u32_e32 v70, vcc, s12, v152
	v_addc_co_u32_e32 v71, vcc, v0, v153, vcc
	v_lshlrev_b64 v[0:1], 4, v[150:151]
	s_movk_i32 s4, 0x3000
	v_add_co_u32_e32 v62, vcc, v70, v0
	v_addc_co_u32_e32 v63, vcc, v71, v1, vcc
	v_add_co_u32_e32 v60, vcc, 0x2000, v62
	v_addc_co_u32_e32 v61, vcc, 0, v63, vcc
	;; [unrolled: 2-line block ×3, first 2 shown]
	s_movk_i32 s4, 0x1000
	v_add_co_u32_e32 v92, vcc, s4, v62
	v_addc_co_u32_e32 v93, vcc, 0, v63, vcc
	s_movk_i32 s4, 0x4000
	v_or_b32_e32 v154, 0x1c0, v150
	v_mov_b32_e32 v155, v151
	v_add_co_u32_e32 v94, vcc, s4, v62
	v_lshlrev_b64 v[24:25], 4, v[154:155]
	v_addc_co_u32_e32 v95, vcc, 0, v63, vcc
	v_add_co_u32_e32 v100, vcc, v70, v24
	v_addc_co_u32_e32 v101, vcc, v71, v25, vcc
	v_add_co_u32_e32 v106, vcc, 0x5000, v62
	global_load_dwordx4 v[12:15], v[68:69], off offset:1600
	global_load_dwordx4 v[16:19], v[68:69], off offset:2496
	;; [unrolled: 1-line block ×8, first 2 shown]
	v_addc_co_u32_e32 v107, vcc, 0, v63, vcc
	global_load_dwordx4 v[64:67], v[94:95], off offset:192
	global_load_dwordx4 v[32:35], v[92:93], off offset:3968
	;; [unrolled: 1-line block ×8, first 2 shown]
	global_load_dwordx4 v[44:47], v[100:101], off
	global_load_dwordx4 v[48:51], v[106:107], off offset:576
	global_load_dwordx4 v[40:43], v[60:61], off offset:768
	;; [unrolled: 1-line block ×3, first 2 shown]
	global_load_dwordx4 v[88:91], v[62:63], off
	global_load_dwordx4 v[80:83], v[62:63], off offset:896
	global_load_dwordx4 v[76:79], v[62:63], off offset:1792
                                        ; kill: killed $vgpr68 killed $vgpr69
                                        ; kill: killed $vgpr106 killed $vgpr107
                                        ; kill: killed $vgpr60 killed $vgpr61
                                        ; kill: killed $vgpr100 killed $vgpr101
                                        ; kill: killed $vgpr94 killed $vgpr95
                                        ; kill: killed $vgpr92 killed $vgpr93
	global_load_dwordx4 v[92:95], v[62:63], off offset:2688
	v_cmp_gt_u32_e32 vcc, 28, v150
                                        ; implicit-def: $vgpr60_vgpr61
                                        ; implicit-def: $vgpr68_vgpr69
	s_and_saveexec_b64 s[4:5], vcc
	s_cbranch_execz .LBB0_14
; %bb.13:
	v_or_b32_e32 v60, 0x2a0, v150
	v_mov_b32_e32 v61, v151
	v_lshlrev_b64 v[60:61], 4, v[60:61]
	v_add_co_u32_e32 v100, vcc, v70, v60
	v_addc_co_u32_e32 v101, vcc, v71, v61, vcc
	v_add_co_u32_e32 v106, vcc, 0x5000, v62
	v_addc_co_u32_e32 v107, vcc, 0, v63, vcc
	global_load_dwordx4 v[60:63], v[100:101], off
	global_load_dwordx4 v[68:71], v[106:107], off offset:1472
.LBB0_14:
	s_or_b64 exec, exec, s[4:5]
.LBB0_15:
	s_or_b64 exec, exec, s[2:3]
	s_waitcnt vmcnt(3)
	v_add_f64 v[102:103], v[88:89], -v[102:103]
	s_waitcnt vmcnt(2)
	v_add_f64 v[108:109], v[80:81], -v[96:97]
	;; [unrolled: 2-line block ×3, first 2 shown]
	v_lshl_add_u32 v84, v150, 4, 0
	v_add_u32_e32 v159, 56, v150
	v_add_u32_e32 v160, 0x70, v150
	s_waitcnt vmcnt(0)
	v_add_f64 v[116:117], v[92:93], -v[12:13]
	v_add_f64 v[120:121], v[72:73], -v[16:17]
	v_fma_f64 v[100:101], v[88:89], 2.0, -v[102:103]
	v_fma_f64 v[106:107], v[80:81], 2.0, -v[108:109]
	;; [unrolled: 1-line block ×3, first 2 shown]
	v_lshl_add_u32 v77, v159, 4, 0
	v_lshl_add_u32 v76, v160, 4, 0
	v_add_u32_e32 v161, 0xa8, v150
	v_fma_f64 v[114:115], v[92:93], 2.0, -v[116:117]
	v_fma_f64 v[118:119], v[72:73], 2.0, -v[120:121]
	ds_write_b128 v84, v[100:103]
	ds_write_b128 v77, v[106:109]
	;; [unrolled: 1-line block ×3, first 2 shown]
	v_add_f64 v[102:103], v[4:5], -v[64:65]
	v_add_f64 v[108:109], v[8:9], -v[24:25]
	v_add_u32_e32 v162, 0xe0, v150
	v_add_u32_e32 v16, 0x150, v150
	;; [unrolled: 1-line block ×3, first 2 shown]
	v_lshl_add_u32 v72, v161, 4, 0
	v_lshl_add_u32 v64, v162, 4, 0
	v_add_f64 v[112:113], v[44:45], -v[28:29]
	v_fma_f64 v[100:101], v[4:5], 2.0, -v[102:103]
	v_fma_f64 v[106:107], v[8:9], 2.0, -v[108:109]
	v_lshl_add_u32 v25, v16, 4, 0
	v_lshl_add_u32 v29, v17, 4, 0
	v_add_f64 v[124:125], v[0:1], -v[20:21]
	ds_write_b128 v72, v[114:117]
	ds_write_b128 v64, v[118:121]
	v_add_f64 v[116:117], v[32:33], -v[56:57]
	ds_write_b128 v25, v[100:103]
	v_add_f64 v[120:121], v[40:41], -v[52:53]
	;; [unrolled: 2-line block ×3, first 2 shown]
	v_add_f64 v[102:103], v[60:61], -v[68:69]
	v_fma_f64 v[122:123], v[0:1], 2.0, -v[124:125]
	v_fma_f64 v[110:111], v[44:45], 2.0, -v[112:113]
	;; [unrolled: 1-line block ×3, first 2 shown]
	v_add_u32_e32 v13, 0x118, v150
	v_fma_f64 v[118:119], v[40:41], 2.0, -v[120:121]
	v_add_u32_e32 v20, 0x1f8, v150
	v_fma_f64 v[106:107], v[36:37], 2.0, -v[108:109]
	v_fma_f64 v[100:101], v[60:61], 2.0, -v[102:103]
	v_add_u32_e32 v21, 0x230, v150
	v_add_u32_e32 v24, 0x268, v150
	;; [unrolled: 1-line block ×3, first 2 shown]
	v_lshl_add_u32 v28, v13, 4, 0
	v_lshl_add_u32 v33, v154, 4, 0
	;; [unrolled: 1-line block ×5, first 2 shown]
	v_cmp_gt_u32_e32 vcc, 28, v150
	v_lshl_add_u32 v32, v12, 4, 0
	ds_write_b128 v28, v[122:125]
	ds_write_b128 v33, v[110:113]
	ds_write_b128 v40, v[114:117]
	ds_write_b128 v37, v[118:121]
	ds_write_b128 v36, v[106:109]
	s_and_saveexec_b64 s[2:3], vcc
	s_cbranch_execz .LBB0_17
; %bb.16:
	ds_write_b128 v32, v[100:103]
.LBB0_17:
	s_or_b64 exec, exec, s[2:3]
	v_lshl_add_u32 v151, v150, 3, 0
	v_add_u32_e32 v0, 0x1000, v151
	s_waitcnt lgkmcnt(0)
	; wave barrier
	s_waitcnt lgkmcnt(0)
	ds_read2_b64 v[126:129], v0 offset0:104 offset1:188
	v_add_u32_e32 v0, 0x1400, v151
	ds_read2_b64 v[130:133], v151 offset1:56
	ds_read2_b64 v[122:125], v0 offset0:116 offset1:172
	ds_read2_b64 v[134:137], v151 offset0:112 offset1:168
	v_add_u32_e32 v0, 0x1800, v151
	ds_read2_b64 v[114:117], v0 offset0:100 offset1:156
	v_add_u32_e32 v0, 0x400, v151
	;; [unrolled: 2-line block ×5, first 2 shown]
	v_add_u32_e32 v1, 0xc00, v151
	ds_read2_b64 v[110:113], v0 offset0:68 offset1:124
	v_lshl_add_u32 v163, v154, 3, 0
	ds_read2_b64 v[146:149], v1 offset0:120 offset1:176
	ds_read2_b64 v[106:109], v0 offset0:180 offset1:236
	ds_read_b64 v[8:9], v163
	ds_read_b64 v[0:1], v151 offset:10528
	s_and_saveexec_b64 s[2:3], vcc
	s_cbranch_execz .LBB0_19
; %bb.18:
	ds_read_b64 v[100:101], v151 offset:5376
	ds_read_b64 v[102:103], v151 offset:10976
.LBB0_19:
	s_or_b64 exec, exec, s[2:3]
	v_add_f64 v[88:89], v[90:91], -v[104:105]
	v_add_f64 v[52:53], v[2:3], -v[22:23]
	v_add_f64 v[4:5], v[62:63], -v[70:71]
	v_add_f64 v[92:93], v[82:83], -v[98:99]
	v_add_f64 v[80:81], v[78:79], -v[86:87]
	v_add_f64 v[96:97], v[94:95], -v[14:15]
	v_add_f64 v[157:158], v[74:75], -v[18:19]
	v_add_f64 v[56:57], v[6:7], -v[66:67]
	v_add_f64 v[60:61], v[10:11], -v[26:27]
	v_fma_f64 v[86:87], v[90:91], 2.0, -v[88:89]
	v_add_f64 v[48:49], v[46:47], -v[30:31]
	v_add_f64 v[67:68], v[34:35], -v[58:59]
	;; [unrolled: 1-line block ×4, first 2 shown]
	v_fma_f64 v[50:51], v[2:3], 2.0, -v[52:53]
	v_fma_f64 v[2:3], v[62:63], 2.0, -v[4:5]
	;; [unrolled: 1-line block ×12, first 2 shown]
	s_waitcnt lgkmcnt(0)
	; wave barrier
	s_waitcnt lgkmcnt(0)
	ds_write_b128 v84, v[86:89]
	ds_write_b128 v77, v[90:93]
	;; [unrolled: 1-line block ×12, first 2 shown]
	s_and_saveexec_b64 s[2:3], vcc
	s_cbranch_execz .LBB0_21
; %bb.20:
	ds_write_b128 v32, v[2:5]
.LBB0_21:
	s_or_b64 exec, exec, s[2:3]
	v_add_u32_e32 v6, 0x1000, v151
	s_waitcnt lgkmcnt(0)
	; wave barrier
	s_waitcnt lgkmcnt(0)
	ds_read2_b64 v[30:33], v6 offset0:104 offset1:188
	v_add_u32_e32 v6, 0x1400, v151
	ds_read2_b64 v[66:69], v151 offset1:56
	ds_read2_b64 v[78:81], v6 offset0:116 offset1:172
	ds_read2_b64 v[70:73], v151 offset0:112 offset1:168
	v_add_u32_e32 v6, 0x1800, v151
	ds_read2_b64 v[82:85], v6 offset0:100 offset1:156
	v_add_u32_e32 v6, 0x400, v151
	;; [unrolled: 2-line block ×5, first 2 shown]
	v_add_u32_e32 v7, 0xc00, v151
	ds_read2_b64 v[90:93], v6 offset0:68 offset1:124
	ds_read2_b64 v[54:57], v7 offset0:120 offset1:176
	;; [unrolled: 1-line block ×3, first 2 shown]
	ds_read_b64 v[155:156], v163
	ds_read_b64 v[157:158], v151 offset:10528
	v_lshlrev_b32_e32 v164, 1, v150
	v_lshlrev_b32_e32 v165, 1, v159
	;; [unrolled: 1-line block ×12, first 2 shown]
	s_and_saveexec_b64 s[2:3], vcc
	s_cbranch_execz .LBB0_23
; %bb.22:
	ds_read_b64 v[2:3], v151 offset:5376
	ds_read_b64 v[4:5], v151 offset:10976
.LBB0_23:
	s_or_b64 exec, exec, s[2:3]
	v_and_b32_e32 v175, 1, v150
	v_lshlrev_b32_e32 v6, 4, v175
	global_load_dwordx4 v[94:97], v6, s[8:9]
	s_movk_i32 s2, 0x7c
	s_movk_i32 s3, 0xfc
	;; [unrolled: 1-line block ×3, first 2 shown]
	v_and_or_b32 v6, v164, s2, v175
	v_and_or_b32 v7, v165, s3, v175
	s_movk_i32 s5, 0x3fc
	s_movk_i32 s6, 0x2fc
	v_and_or_b32 v10, v166, s4, v175
	v_and_or_b32 v11, v167, s4, v175
	v_lshl_add_u32 v176, v6, 3, 0
	v_lshl_add_u32 v177, v7, 3, 0
	v_and_or_b32 v13, v168, s5, v175
	v_and_or_b32 v14, v169, s6, v175
	v_lshl_add_u32 v178, v10, 3, 0
	v_lshl_add_u32 v179, v11, 3, 0
	s_movk_i32 s7, 0x7fc
	v_and_or_b32 v15, v170, s5, v175
	v_and_or_b32 v16, v171, s5, v175
	v_lshl_add_u32 v180, v13, 3, 0
	v_lshl_add_u32 v181, v14, 3, 0
	s_movk_i32 s10, 0x4fc
	s_movk_i32 s11, 0x5fc
	v_and_or_b32 v17, v154, s5, v175
	v_and_or_b32 v18, v172, s7, v175
	v_lshl_add_u32 v182, v15, 3, 0
	v_lshl_add_u32 v183, v16, 3, 0
	v_and_or_b32 v19, v173, s10, v175
	v_and_or_b32 v20, v174, s11, v175
	v_lshl_add_u32 v184, v17, 3, 0
	v_lshl_add_u32 v185, v18, 3, 0
	v_lshl_add_u32 v186, v19, 3, 0
	v_lshl_add_u32 v187, v20, 3, 0
	s_waitcnt lgkmcnt(0)
	; wave barrier
	s_waitcnt vmcnt(0) lgkmcnt(0)
	v_mul_f64 v[6:7], v[32:33], v[96:97]
	v_mul_f64 v[10:11], v[78:79], v[96:97]
	;; [unrolled: 1-line block ×13, first 2 shown]
	v_fma_f64 v[6:7], v[128:129], v[94:95], v[6:7]
	v_fma_f64 v[10:11], v[122:123], v[94:95], v[10:11]
	;; [unrolled: 1-line block ×13, first 2 shown]
	v_add_f64 v[6:7], v[130:131], -v[6:7]
	v_add_f64 v[10:11], v[132:133], -v[10:11]
	;; [unrolled: 1-line block ×13, first 2 shown]
	v_fma_f64 v[42:43], v[130:131], 2.0, -v[6:7]
	v_fma_f64 v[44:45], v[132:133], 2.0, -v[10:11]
	;; [unrolled: 1-line block ×13, first 2 shown]
	ds_write2_b64 v176, v[42:43], v[6:7] offset1:2
	ds_write2_b64 v177, v[44:45], v[10:11] offset1:2
	;; [unrolled: 1-line block ×12, first 2 shown]
	v_lshlrev_b32_e32 v130, 1, v12
	s_and_saveexec_b64 s[2:3], vcc
	s_cbranch_execz .LBB0_25
; %bb.24:
	s_movk_i32 s4, 0x57c
	v_and_or_b32 v6, v130, s4, v175
	v_lshl_add_u32 v6, v6, 3, 0
	ds_write2_b64 v6, v[100:101], v[98:99] offset1:2
.LBB0_25:
	s_or_b64 exec, exec, s[2:3]
	v_add_u32_e32 v6, 0x1000, v151
	s_waitcnt lgkmcnt(0)
	; wave barrier
	s_waitcnt lgkmcnt(0)
	ds_read2_b64 v[26:29], v6 offset0:104 offset1:188
	v_add_u32_e32 v6, 0x1400, v151
	ds_read2_b64 v[34:37], v151 offset1:56
	ds_read2_b64 v[22:25], v6 offset0:116 offset1:172
	ds_read2_b64 v[42:45], v151 offset0:112 offset1:168
	v_add_u32_e32 v6, 0x1800, v151
	ds_read2_b64 v[14:17], v6 offset0:100 offset1:156
	v_add_u32_e32 v6, 0x400, v151
	ds_read2_b64 v[50:53], v6 offset0:96 offset1:152
	v_add_u32_e32 v6, 0x1c00, v151
	ds_read2_b64 v[18:21], v6 offset0:84 offset1:140
	v_add_u32_e32 v6, 0x800, v151
	ds_read2_b64 v[58:61], v6 offset0:80 offset1:136
	v_add_u32_e32 v6, 0x2000, v151
	v_add_u32_e32 v7, 0xc00, v151
	ds_read2_b64 v[10:13], v6 offset0:68 offset1:124
	ds_read2_b64 v[62:65], v7 offset0:120 offset1:176
	;; [unrolled: 1-line block ×3, first 2 shown]
	ds_read_b64 v[126:127], v163
	ds_read_b64 v[104:105], v151 offset:10528
	s_and_saveexec_b64 s[2:3], vcc
	s_cbranch_execz .LBB0_27
; %bb.26:
	ds_read_b64 v[100:101], v151 offset:5376
	ds_read_b64 v[98:99], v151 offset:10976
.LBB0_27:
	s_or_b64 exec, exec, s[2:3]
	v_mul_f64 v[106:107], v[106:107], v[96:97]
	v_mul_f64 v[128:129], v[128:129], v[96:97]
	;; [unrolled: 1-line block ×10, first 2 shown]
	v_fma_f64 v[74:75], v[74:75], v[94:95], -v[106:107]
	v_mul_f64 v[106:107], v[108:109], v[96:97]
	v_mul_f64 v[0:1], v[0:1], v[96:97]
	;; [unrolled: 1-line block ×3, first 2 shown]
	v_fma_f64 v[32:33], v[32:33], v[94:95], -v[128:129]
	v_fma_f64 v[78:79], v[78:79], v[94:95], -v[122:123]
	;; [unrolled: 1-line block ×10, first 2 shown]
	v_add_f64 v[32:33], v[66:67], -v[32:33]
	v_fma_f64 v[76:77], v[76:77], v[94:95], -v[106:107]
	v_fma_f64 v[0:1], v[157:158], v[94:95], -v[0:1]
	v_add_f64 v[78:79], v[68:69], -v[78:79]
	v_add_f64 v[80:81], v[70:71], -v[80:81]
	;; [unrolled: 1-line block ×8, first 2 shown]
	v_fma_f64 v[66:67], v[66:67], 2.0, -v[32:33]
	v_add_f64 v[92:93], v[155:156], -v[92:93]
	v_add_f64 v[74:75], v[54:55], -v[74:75]
	;; [unrolled: 1-line block ×4, first 2 shown]
	v_fma_f64 v[94:95], v[2:3], 2.0, -v[96:97]
	v_fma_f64 v[68:69], v[68:69], 2.0, -v[78:79]
	;; [unrolled: 1-line block ×12, first 2 shown]
	s_waitcnt lgkmcnt(0)
	; wave barrier
	s_waitcnt lgkmcnt(0)
	ds_write2_b64 v176, v[66:67], v[32:33] offset1:2
	ds_write2_b64 v177, v[68:69], v[78:79] offset1:2
	;; [unrolled: 1-line block ×12, first 2 shown]
	s_and_saveexec_b64 s[2:3], vcc
	s_cbranch_execz .LBB0_29
; %bb.28:
	s_movk_i32 s4, 0x57c
	v_and_or_b32 v0, v130, s4, v175
	v_lshl_add_u32 v0, v0, 3, 0
	ds_write2_b64 v0, v[94:95], v[96:97] offset1:2
.LBB0_29:
	s_or_b64 exec, exec, s[2:3]
	v_add_u32_e32 v0, 0x1000, v151
	s_waitcnt lgkmcnt(0)
	; wave barrier
	s_waitcnt lgkmcnt(0)
	ds_read2_b64 v[2:5], v0 offset0:104 offset1:188
	v_add_u32_e32 v0, 0x1400, v151
	ds_read2_b64 v[54:57], v151 offset1:56
	ds_read2_b64 v[74:77], v0 offset0:116 offset1:172
	ds_read2_b64 v[66:69], v151 offset0:112 offset1:168
	v_add_u32_e32 v0, 0x1800, v151
	ds_read2_b64 v[78:81], v0 offset0:100 offset1:156
	v_add_u32_e32 v0, 0x400, v151
	;; [unrolled: 2-line block ×5, first 2 shown]
	v_add_u32_e32 v1, 0xc00, v151
	ds_read2_b64 v[86:89], v0 offset0:68 offset1:124
	ds_read2_b64 v[46:49], v1 offset0:120 offset1:176
	;; [unrolled: 1-line block ×3, first 2 shown]
	ds_read_b64 v[102:103], v163
	ds_read_b64 v[106:107], v151 offset:10528
	s_and_saveexec_b64 s[2:3], vcc
	s_cbranch_execz .LBB0_31
; %bb.30:
	ds_read_b64 v[94:95], v151 offset:5376
	ds_read_b64 v[96:97], v151 offset:10976
.LBB0_31:
	s_or_b64 exec, exec, s[2:3]
	v_and_b32_e32 v108, 3, v150
	v_lshlrev_b32_e32 v0, 4, v108
	global_load_dwordx4 v[90:93], v0, s[8:9] offset:32
	s_movk_i32 s2, 0x78
	s_movk_i32 s3, 0xf8
	v_and_or_b32 v0, v164, s2, v108
	v_and_or_b32 v1, v165, s3, v108
	v_lshl_add_u32 v109, v0, 3, 0
	v_lshl_add_u32 v110, v1, 3, 0
	s_movk_i32 s5, 0x3f8
	v_and_or_b32 v117, v154, s5, v108
	s_movk_i32 s4, 0x1f8
	s_movk_i32 s6, 0x2f8
	s_movk_i32 s7, 0x7f8
	s_movk_i32 s10, 0x4f8
	s_movk_i32 s11, 0x5f8
	v_and_or_b32 v111, v166, s4, v108
	v_and_or_b32 v112, v167, s4, v108
	;; [unrolled: 1-line block ×9, first 2 shown]
	v_lshl_add_u32 v111, v111, 3, 0
	v_lshl_add_u32 v112, v112, 3, 0
	;; [unrolled: 1-line block ×10, first 2 shown]
	s_waitcnt lgkmcnt(0)
	; wave barrier
	s_waitcnt vmcnt(0) lgkmcnt(0)
	v_mul_f64 v[0:1], v[4:5], v[92:93]
	v_mul_f64 v[121:122], v[74:75], v[92:93]
	;; [unrolled: 1-line block ×13, first 2 shown]
	v_fma_f64 v[0:1], v[28:29], v[90:91], v[0:1]
	v_fma_f64 v[121:122], v[22:23], v[90:91], v[121:122]
	;; [unrolled: 1-line block ×13, first 2 shown]
	v_add_f64 v[154:155], v[34:35], -v[0:1]
	v_add_f64 v[121:122], v[36:37], -v[121:122]
	;; [unrolled: 1-line block ×13, first 2 shown]
	v_fma_f64 v[34:35], v[34:35], 2.0, -v[154:155]
	v_fma_f64 v[36:37], v[36:37], 2.0, -v[121:122]
	;; [unrolled: 1-line block ×12, first 2 shown]
	ds_write2_b64 v109, v[34:35], v[154:155] offset1:4
	ds_write2_b64 v110, v[36:37], v[121:122] offset1:4
	;; [unrolled: 1-line block ×12, first 2 shown]
	s_and_saveexec_b64 s[2:3], vcc
	s_cbranch_execz .LBB0_33
; %bb.32:
	v_fma_f64 v[26:27], v[100:101], 2.0, -v[0:1]
	s_movk_i32 s4, 0x578
	v_and_or_b32 v34, v130, s4, v108
	v_lshl_add_u32 v34, v34, 3, 0
	ds_write2_b64 v34, v[26:27], v[0:1] offset1:4
.LBB0_33:
	s_or_b64 exec, exec, s[2:3]
	v_mul_f64 v[26:27], v[28:29], v[92:93]
	v_mul_f64 v[24:25], v[24:25], v[92:93]
	;; [unrolled: 1-line block ×8, first 2 shown]
	v_fma_f64 v[4:5], v[4:5], v[90:91], -v[26:27]
	v_mul_f64 v[18:19], v[18:19], v[92:93]
	v_mul_f64 v[10:11], v[10:11], v[92:93]
	;; [unrolled: 1-line block ×4, first 2 shown]
	v_fma_f64 v[24:25], v[76:77], v[90:91], -v[24:25]
	v_mul_f64 v[28:29], v[98:99], v[92:93]
	v_fma_f64 v[22:23], v[74:75], v[90:91], -v[22:23]
	v_fma_f64 v[16:17], v[80:81], v[90:91], -v[16:17]
	;; [unrolled: 1-line block ×3, first 2 shown]
	v_add_f64 v[74:75], v[54:55], -v[4:5]
	v_fma_f64 v[4:5], v[70:71], v[90:91], -v[6:7]
	v_fma_f64 v[6:7], v[72:73], v[90:91], -v[8:9]
	;; [unrolled: 1-line block ×7, first 2 shown]
	v_add_f64 v[76:77], v[66:67], -v[24:25]
	v_fma_f64 v[24:25], v[96:97], v[90:91], -v[28:29]
	v_add_f64 v[22:23], v[56:57], -v[22:23]
	v_add_f64 v[80:81], v[30:31], -v[16:17]
	;; [unrolled: 1-line block ×10, first 2 shown]
	v_fma_f64 v[70:71], v[54:55], 2.0, -v[74:75]
	v_add_f64 v[4:5], v[94:95], -v[24:25]
	v_add_u32_e32 v6, 0x400, v151
	v_add_u32_e32 v104, 0x1000, v151
	;; [unrolled: 1-line block ×5, first 2 shown]
	v_fma_f64 v[72:73], v[56:57], 2.0, -v[22:23]
	v_fma_f64 v[78:79], v[66:67], 2.0, -v[76:77]
	;; [unrolled: 1-line block ×5, first 2 shown]
	s_waitcnt lgkmcnt(0)
	; wave barrier
	s_waitcnt lgkmcnt(0)
	ds_read2_b64 v[28:31], v151 offset1:56
	ds_read2_b64 v[16:19], v6 offset0:96 offset1:152
	ds_read2_b64 v[60:63], v104 offset0:48 offset1:104
	ds_read2_b64 v[36:39], v106 offset0:16 offset1:72
	ds_read2_b64 v[64:67], v105 offset0:96 offset1:152
	ds_read2_b64 v[56:59], v107 offset0:80 offset1:136
	ds_read2_b64 v[52:55], v106 offset0:128 offset1:184
	ds_read2_b64 v[24:27], v151 offset0:112 offset1:168
	ds_read2_b64 v[48:51], v104 offset0:160 offset1:216
	v_add_u32_e32 v10, 0x2400, v151
	v_add_u32_e32 v11, 0x1c00, v151
	v_fma_f64 v[68:69], v[68:69], 2.0, -v[14:15]
	v_fma_f64 v[92:93], v[32:33], 2.0, -v[82:83]
	;; [unrolled: 1-line block ×6, first 2 shown]
	ds_read2_b64 v[44:47], v10 offset0:80 offset1:136
	ds_read2_b64 v[40:43], v107 offset0:192 offset1:248
	;; [unrolled: 1-line block ×3, first 2 shown]
	ds_read_b64 v[2:3], v151 offset:10752
	s_waitcnt lgkmcnt(0)
	; wave barrier
	s_waitcnt lgkmcnt(0)
	ds_write2_b64 v109, v[70:71], v[74:75] offset1:4
	ds_write2_b64 v110, v[72:73], v[22:23] offset1:4
	;; [unrolled: 1-line block ×12, first 2 shown]
	s_and_saveexec_b64 s[2:3], vcc
	s_cbranch_execz .LBB0_35
; %bb.34:
	v_fma_f64 v[7:8], v[94:95], 2.0, -v[4:5]
	s_movk_i32 s4, 0x578
	v_and_or_b32 v9, v130, s4, v108
	v_lshl_add_u32 v9, v9, 3, 0
	ds_write2_b64 v9, v[7:8], v[4:5] offset1:4
.LBB0_35:
	s_or_b64 exec, exec, s[2:3]
	v_and_b32_e32 v157, 7, v150
	v_lshlrev_b32_e32 v7, 6, v157
	s_waitcnt lgkmcnt(0)
	; wave barrier
	s_waitcnt lgkmcnt(0)
	global_load_dwordx4 v[68:71], v7, s[8:9] offset:96
	global_load_dwordx4 v[72:75], v7, s[8:9] offset:112
	;; [unrolled: 1-line block ×4, first 2 shown]
	ds_read2_b64 v[20:23], v151 offset1:56
	ds_read2_b64 v[6:9], v6 offset0:96 offset1:152
	ds_read2_b64 v[76:79], v104 offset0:48 offset1:104
	;; [unrolled: 1-line block ×11, first 2 shown]
	ds_read_b64 v[10:11], v151 offset:10752
	s_mov_b32 s6, 0x134454ff
	s_mov_b32 s7, 0xbfee6f0e
	;; [unrolled: 1-line block ×10, first 2 shown]
	s_waitcnt lgkmcnt(0)
	; wave barrier
	s_waitcnt lgkmcnt(0)
	v_lshrrev_b32_e32 v156, 3, v162
	v_cmp_gt_u32_e32 vcc, 32, v150
	s_waitcnt vmcnt(3)
	v_mul_f64 v[80:81], v[8:9], v[70:71]
	s_waitcnt vmcnt(2)
	v_mul_f64 v[112:113], v[76:77], v[74:75]
	;; [unrolled: 2-line block ×3, first 2 shown]
	v_mul_f64 v[86:87], v[18:19], v[70:71]
	s_waitcnt vmcnt(0)
	v_mul_f64 v[120:121], v[92:93], v[165:166]
	v_mul_f64 v[122:123], v[64:65], v[165:166]
	;; [unrolled: 1-line block ×4, first 2 shown]
	v_fma_f64 v[148:149], v[18:19], v[68:69], v[80:81]
	v_fma_f64 v[144:145], v[60:61], v[72:73], v[112:113]
	;; [unrolled: 1-line block ×3, first 2 shown]
	v_mul_f64 v[124:125], v[96:97], v[70:71]
	v_mul_f64 v[126:127], v[56:57], v[70:71]
	;; [unrolled: 1-line block ×5, first 2 shown]
	v_fma_f64 v[142:143], v[8:9], v[68:69], -v[86:87]
	v_fma_f64 v[154:155], v[64:65], v[163:164], v[120:121]
	v_fma_f64 v[130:131], v[92:93], v[163:164], -v[122:123]
	v_add_f64 v[8:9], v[28:29], v[148:149]
	v_add_f64 v[18:19], v[144:145], v[146:147]
	v_mul_f64 v[128:129], v[78:79], v[74:75]
	v_mul_f64 v[132:133], v[62:63], v[74:75]
	;; [unrolled: 1-line block ×24, first 2 shown]
	v_fma_f64 v[136:137], v[76:77], v[72:73], -v[114:115]
	v_fma_f64 v[134:135], v[90:91], v[82:83], -v[118:119]
	v_fma_f64 v[138:139], v[56:57], v[68:69], v[124:125]
	v_fma_f64 v[116:117], v[96:97], v[68:69], -v[126:127]
	v_fma_f64 v[96:97], v[102:103], v[82:83], -v[195:196]
	v_fma_f64 v[102:103], v[32:33], v[82:83], v[209:210]
	v_fma_f64 v[76:77], v[42:43], v[68:69], v[217:218]
	v_add_f64 v[32:33], v[142:143], -v[130:131]
	v_add_f64 v[8:9], v[8:9], v[144:145]
	v_fma_f64 v[18:19], v[18:19], -0.5, v[28:29]
	v_add_f64 v[42:43], v[148:149], v[154:155]
	v_mul_f64 v[179:180], v[52:53], v[84:85]
	v_mul_f64 v[223:224], v[177:178], v[84:85]
	;; [unrolled: 1-line block ×3, first 2 shown]
	v_fma_f64 v[128:129], v[62:63], v[72:73], v[128:129]
	v_fma_f64 v[120:121], v[78:79], v[72:73], -v[132:133]
	v_fma_f64 v[132:133], v[52:53], v[82:83], v[140:141]
	v_fma_f64 v[124:125], v[94:95], v[163:164], -v[183:184]
	;; [unrolled: 2-line block ×4, first 2 shown]
	v_fma_f64 v[126:127], v[44:45], v[163:164], v[197:198]
	v_fma_f64 v[108:109], v[40:41], v[68:69], v[201:202]
	v_fma_f64 v[84:85], v[171:172], v[68:69], -v[203:204]
	v_fma_f64 v[98:99], v[50:51], v[72:73], v[205:206]
	v_fma_f64 v[86:87], v[110:111], v[72:73], -v[207:208]
	v_fma_f64 v[68:69], v[173:174], v[68:69], -v[70:71]
	v_fma_f64 v[80:81], v[36:37], v[72:73], v[219:220]
	v_fma_f64 v[70:71], v[88:89], v[72:73], -v[221:222]
	v_add_f64 v[36:37], v[136:137], -v[134:135]
	v_add_f64 v[38:39], v[148:149], -v[144:145]
	;; [unrolled: 1-line block ×3, first 2 shown]
	v_add_f64 v[8:9], v[8:9], v[146:147]
	v_fma_f64 v[44:45], v[32:33], s[6:7], v[18:19]
	v_fma_f64 v[72:73], v[10:11], v[163:164], -v[165:166]
	v_fma_f64 v[10:11], v[42:43], -0.5, v[28:29]
	v_add_f64 v[28:29], v[30:31], v[138:139]
	v_fma_f64 v[140:141], v[66:67], v[163:164], v[181:182]
	v_fma_f64 v[88:89], v[34:35], v[82:83], v[223:224]
	;; [unrolled: 1-line block ×3, first 2 shown]
	v_add_f64 v[2:3], v[38:39], v[40:41]
	v_add_f64 v[38:39], v[8:9], v[154:155]
	v_fma_f64 v[8:9], v[36:37], s[2:3], v[44:45]
	v_fma_f64 v[18:19], v[32:33], s[10:11], v[18:19]
	v_add_f64 v[34:35], v[128:129], v[132:133]
	v_fma_f64 v[40:41], v[36:37], s[10:11], v[10:11]
	v_add_f64 v[42:43], v[144:145], -v[148:149]
	v_add_f64 v[44:45], v[146:147], -v[154:155]
	v_fma_f64 v[10:11], v[36:37], s[6:7], v[10:11]
	v_add_f64 v[28:29], v[28:29], v[128:129]
	v_fma_f64 v[122:123], v[100:101], v[82:83], -v[179:180]
	v_fma_f64 v[18:19], v[36:37], s[14:15], v[18:19]
	v_fma_f64 v[34:35], v[34:35], -0.5, v[30:31]
	v_add_f64 v[36:37], v[116:117], -v[124:125]
	v_fma_f64 v[40:41], v[32:33], s[2:3], v[40:41]
	v_add_f64 v[42:43], v[42:43], v[44:45]
	v_fma_f64 v[10:11], v[32:33], s[14:15], v[10:11]
	v_add_f64 v[32:33], v[138:139], v[140:141]
	v_add_f64 v[28:29], v[28:29], v[132:133]
	v_fma_f64 v[114:115], v[54:55], v[82:83], v[193:194]
	v_fma_f64 v[110:111], v[46:47], v[163:164], v[213:214]
	v_fma_f64 v[44:45], v[2:3], s[4:5], v[8:9]
	v_fma_f64 v[2:3], v[2:3], s[4:5], v[18:19]
	v_fma_f64 v[8:9], v[36:37], s[6:7], v[34:35]
	v_add_f64 v[18:19], v[120:121], -v[122:123]
	v_fma_f64 v[40:41], v[42:43], s[4:5], v[40:41]
	v_fma_f64 v[42:43], v[42:43], s[4:5], v[10:11]
	v_fma_f64 v[10:11], v[32:33], -0.5, v[30:31]
	v_add_f64 v[30:31], v[28:29], v[140:141]
	v_add_f64 v[28:29], v[138:139], -v[128:129]
	v_add_f64 v[32:33], v[140:141], -v[132:133]
	v_fma_f64 v[34:35], v[36:37], s[10:11], v[34:35]
	v_add_f64 v[46:47], v[24:25], v[118:119]
	v_fma_f64 v[100:101], v[167:168], v[163:164], -v[199:200]
	v_fma_f64 v[8:9], v[18:19], s[2:3], v[8:9]
	v_add_f64 v[48:49], v[112:113], v[114:115]
	v_fma_f64 v[50:51], v[18:19], s[10:11], v[10:11]
	v_add_f64 v[52:53], v[128:129], -v[138:139]
	v_add_f64 v[54:55], v[132:133], -v[140:141]
	v_add_f64 v[28:29], v[28:29], v[32:33]
	v_fma_f64 v[32:33], v[18:19], s[14:15], v[34:35]
	v_fma_f64 v[10:11], v[18:19], s[6:7], v[10:11]
	v_add_f64 v[18:19], v[46:47], v[112:113]
	v_fma_f64 v[34:35], v[48:49], -0.5, v[24:25]
	v_add_f64 v[46:47], v[92:93], -v[100:101]
	v_fma_f64 v[48:49], v[36:37], s[2:3], v[50:51]
	v_add_f64 v[50:51], v[52:53], v[54:55]
	v_fma_f64 v[52:53], v[28:29], s[4:5], v[8:9]
	v_fma_f64 v[78:79], v[169:170], v[163:164], -v[215:216]
	v_fma_f64 v[8:9], v[36:37], s[14:15], v[10:11]
	v_add_f64 v[10:11], v[18:19], v[114:115]
	v_add_f64 v[18:19], v[118:119], v[126:127]
	v_fma_f64 v[54:55], v[28:29], s[4:5], v[32:33]
	v_fma_f64 v[28:29], v[46:47], s[6:7], v[34:35]
	v_add_f64 v[32:33], v[94:95], -v[96:97]
	v_fma_f64 v[36:37], v[50:51], s[4:5], v[48:49]
	v_add_f64 v[48:49], v[98:99], v[102:103]
	v_add_f64 v[56:57], v[118:119], -v[112:113]
	v_add_f64 v[58:59], v[126:127], -v[114:115]
	v_fma_f64 v[50:51], v[50:51], s[4:5], v[8:9]
	v_fma_f64 v[8:9], v[18:19], -0.5, v[24:25]
	v_fma_f64 v[74:75], v[175:176], v[82:83], -v[211:212]
	v_add_f64 v[18:19], v[10:11], v[126:127]
	v_fma_f64 v[10:11], v[32:33], s[2:3], v[28:29]
	v_fma_f64 v[28:29], v[48:49], -0.5, v[26:27]
	v_add_f64 v[48:49], v[84:85], -v[78:79]
	v_add_f64 v[56:57], v[56:57], v[58:59]
	v_fma_f64 v[34:35], v[46:47], s[10:11], v[34:35]
	v_fma_f64 v[58:59], v[32:33], s[10:11], v[8:9]
	v_add_f64 v[60:61], v[112:113], -v[118:119]
	v_add_f64 v[62:63], v[114:115], -v[126:127]
	v_fma_f64 v[8:9], v[32:33], s[6:7], v[8:9]
	v_add_f64 v[66:67], v[86:87], -v[74:75]
	v_fma_f64 v[64:65], v[48:49], s[6:7], v[28:29]
	v_fma_f64 v[82:83], v[177:178], v[82:83], -v[225:226]
	v_fma_f64 v[32:33], v[32:33], s[14:15], v[34:35]
	v_add_f64 v[34:35], v[108:109], v[110:111]
	v_fma_f64 v[58:59], v[46:47], s[2:3], v[58:59]
	v_add_f64 v[60:61], v[60:61], v[62:63]
	;; [unrolled: 2-line block ×3, first 2 shown]
	v_add_f64 v[163:164], v[108:109], -v[98:99]
	v_add_f64 v[165:166], v[110:111], -v[102:103]
	v_fma_f64 v[46:47], v[66:67], s[2:3], v[64:65]
	v_fma_f64 v[64:65], v[56:57], s[4:5], v[10:11]
	v_fma_f64 v[10:11], v[34:35], -0.5, v[26:27]
	v_fma_f64 v[26:27], v[56:57], s[4:5], v[32:33]
	v_fma_f64 v[56:57], v[60:61], s[4:5], v[58:59]
	;; [unrolled: 1-line block ×3, first 2 shown]
	v_add_f64 v[8:9], v[80:81], v[88:89]
	v_add_f64 v[60:61], v[76:77], v[90:91]
	;; [unrolled: 1-line block ×3, first 2 shown]
	v_fma_f64 v[28:29], v[48:49], s[10:11], v[28:29]
	v_add_f64 v[34:35], v[98:99], -v[108:109]
	v_add_f64 v[163:164], v[102:103], -v[110:111]
	v_add_f64 v[165:166], v[16:17], v[76:77]
	v_add_f64 v[167:168], v[68:69], -v[72:73]
	v_fma_f64 v[8:9], v[8:9], -0.5, v[16:17]
	v_add_f64 v[169:170], v[70:71], -v[82:83]
	v_fma_f64 v[16:17], v[60:61], -0.5, v[16:17]
	v_fma_f64 v[32:33], v[66:67], s[10:11], v[10:11]
	v_fma_f64 v[28:29], v[66:67], s[14:15], v[28:29]
	v_add_f64 v[34:35], v[34:35], v[163:164]
	v_fma_f64 v[10:11], v[66:67], s[6:7], v[10:11]
	v_add_f64 v[60:61], v[165:166], v[80:81]
	v_fma_f64 v[66:67], v[167:168], s[6:7], v[8:9]
	v_add_f64 v[163:164], v[76:77], -v[80:81]
	v_add_f64 v[165:166], v[90:91], -v[88:89]
	v_fma_f64 v[8:9], v[167:168], s[10:11], v[8:9]
	v_fma_f64 v[171:172], v[169:170], s[10:11], v[16:17]
	v_add_f64 v[173:174], v[80:81], -v[76:77]
	v_add_f64 v[175:176], v[88:89], -v[90:91]
	v_fma_f64 v[16:17], v[169:170], s[6:7], v[16:17]
	v_add_f64 v[24:25], v[24:25], v[98:99]
	v_fma_f64 v[32:33], v[48:49], s[2:3], v[32:33]
	v_fma_f64 v[10:11], v[48:49], s[14:15], v[10:11]
	v_add_f64 v[48:49], v[60:61], v[88:89]
	v_fma_f64 v[60:61], v[169:170], s[2:3], v[66:67]
	v_add_f64 v[66:67], v[163:164], v[165:166]
	;; [unrolled: 2-line block ×4, first 2 shown]
	v_fma_f64 v[165:166], v[167:168], s[2:3], v[171:172]
	v_fma_f64 v[167:168], v[34:35], s[4:5], v[32:33]
	;; [unrolled: 1-line block ×4, first 2 shown]
	v_add_f64 v[48:49], v[48:49], v[90:91]
	v_fma_f64 v[8:9], v[66:67], s[4:5], v[60:61]
	v_fma_f64 v[32:33], v[169:170], s[4:5], v[16:17]
	v_lshrrev_b32_e32 v16, 3, v150
	v_mul_u32_u24_e32 v16, 40, v16
	v_or_b32_e32 v16, v16, v157
	v_lshl_add_u32 v28, v16, 3, 0
	ds_write2_b64 v28, v[38:39], v[44:45] offset1:8
	ds_write2_b64 v28, v[40:41], v[42:43] offset0:16 offset1:24
	ds_write_b64 v28, v[2:3] offset:256
	v_lshrrev_b32_e32 v2, 3, v159
	v_mul_u32_u24_e32 v2, 40, v2
	v_or_b32_e32 v2, v2, v157
	v_lshl_add_u32 v29, v2, 3, 0
	v_lshrrev_b32_e32 v2, 3, v160
	v_add_f64 v[24:25], v[24:25], v[110:111]
	v_mul_u32_u24_e32 v2, 40, v2
	v_fma_f64 v[171:172], v[34:35], s[4:5], v[10:11]
	v_fma_f64 v[10:11], v[169:170], s[4:5], v[165:166]
	v_or_b32_e32 v2, v2, v157
	v_fma_f64 v[34:35], v[66:67], s[4:5], v[163:164]
	ds_write2_b64 v29, v[30:31], v[52:53] offset1:8
	ds_write2_b64 v29, v[36:37], v[50:51] offset0:16 offset1:24
	ds_write_b64 v29, v[54:55] offset:256
	v_lshl_add_u32 v30, v2, 3, 0
	v_lshrrev_b32_e32 v2, 3, v161
	v_mul_u32_u24_e32 v2, 40, v2
	v_or_b32_e32 v2, v2, v157
	v_lshl_add_u32 v31, v2, 3, 0
	v_mul_u32_u24_e32 v2, 40, v156
	v_or_b32_e32 v2, v2, v157
	v_lshl_add_u32 v157, v2, 3, 0
	ds_write2_b64 v30, v[18:19], v[64:65] offset1:8
	ds_write2_b64 v30, v[56:57], v[58:59] offset0:16 offset1:24
	ds_write_b64 v30, v[26:27] offset:256
	ds_write2_b64 v31, v[24:25], v[46:47] offset1:8
	ds_write2_b64 v31, v[167:168], v[171:172] offset0:16 offset1:24
	ds_write_b64 v31, v[62:63] offset:256
	;; [unrolled: 3-line block ×3, first 2 shown]
	s_waitcnt lgkmcnt(0)
	; wave barrier
	s_waitcnt lgkmcnt(0)
	ds_read2_b64 v[24:27], v151 offset1:56
	ds_read2_b64 v[16:19], v151 offset0:112 offset1:200
	ds_read2_b64 v[64:67], v107 offset0:144 offset1:200
	ds_read2_b64 v[44:47], v104 offset1:88
	ds_read2_b64 v[60:63], v106 offset0:32 offset1:88
	ds_read2_b64 v[36:39], v106 offset0:144 offset1:232
	ds_read2_b64 v[56:59], v105 offset0:176 offset1:232
	ds_read2_b64 v[52:55], v107 offset1:56
	ds_read2_b64 v[48:51], v104 offset0:144 offset1:200
	ds_read2_b64 v[40:43], v105 offset0:32 offset1:88
	ds_read_b64 v[106:107], v151 offset:10496
                                        ; implicit-def: $vgpr104_vgpr105
	s_and_saveexec_b64 s[16:17], vcc
	s_cbranch_execz .LBB0_37
; %bb.36:
	v_add_u32_e32 v0, 0x400, v151
	ds_read2_b64 v[8:11], v0 offset0:40 offset1:240
	v_add_u32_e32 v0, 0x1100, v151
	ds_read2_b64 v[32:35], v0 offset0:24 offset1:224
	;; [unrolled: 2-line block ×3, first 2 shown]
	ds_read_b64 v[104:105], v151 offset:10944
.LBB0_37:
	s_or_b64 exec, exec, s[16:17]
	v_add_f64 v[163:164], v[136:137], v[134:135]
	v_add_f64 v[148:149], v[148:149], -v[154:155]
	v_add_f64 v[154:155], v[142:143], v[130:131]
	v_add_f64 v[165:166], v[20:21], v[142:143]
	v_add_f64 v[144:145], v[144:145], -v[146:147]
	v_add_f64 v[146:147], v[142:143], -v[136:137]
	;; [unrolled: 1-line block ×3, first 2 shown]
	v_add_f64 v[171:172], v[22:23], v[116:117]
	v_fma_f64 v[163:164], v[163:164], -0.5, v[20:21]
	v_add_f64 v[142:143], v[136:137], -v[142:143]
	v_fma_f64 v[20:21], v[154:155], -0.5, v[20:21]
	v_add_f64 v[169:170], v[134:135], -v[130:131]
	v_add_f64 v[154:155], v[120:121], v[122:123]
	v_add_f64 v[138:139], v[138:139], -v[140:141]
	v_add_f64 v[136:137], v[165:166], v[136:137]
	v_add_f64 v[146:147], v[146:147], v[167:168]
	v_fma_f64 v[140:141], v[148:149], s[10:11], v[163:164]
	v_fma_f64 v[163:164], v[148:149], s[6:7], v[163:164]
	;; [unrolled: 1-line block ×4, first 2 shown]
	v_add_f64 v[171:172], v[171:172], v[120:121]
	v_add_f64 v[165:166], v[116:117], v[124:125]
	;; [unrolled: 1-line block ×4, first 2 shown]
	v_fma_f64 v[136:137], v[144:145], s[14:15], v[140:141]
	v_fma_f64 v[140:141], v[144:145], s[2:3], v[163:164]
	v_fma_f64 v[144:145], v[154:155], -0.5, v[22:23]
	v_fma_f64 v[154:155], v[148:149], s[14:15], v[167:168]
	v_fma_f64 v[20:21], v[148:149], s[2:3], v[20:21]
	v_add_f64 v[148:149], v[171:172], v[122:123]
	v_add_f64 v[130:131], v[134:135], v[130:131]
	v_add_f64 v[128:129], v[128:129], -v[132:133]
	v_fma_f64 v[134:135], v[146:147], s[4:5], v[136:137]
	v_fma_f64 v[136:137], v[146:147], s[4:5], v[140:141]
	;; [unrolled: 1-line block ×5, first 2 shown]
	v_fma_f64 v[22:23], v[165:166], -0.5, v[22:23]
	v_add_f64 v[142:143], v[148:149], v[124:125]
	v_add_f64 v[146:147], v[116:117], -v[120:121]
	v_add_f64 v[148:149], v[124:125], -v[122:123]
	v_fma_f64 v[144:145], v[138:139], s[6:7], v[144:145]
	v_add_f64 v[154:155], v[12:13], v[92:93]
	v_fma_f64 v[140:141], v[128:129], s[14:15], v[140:141]
	v_add_f64 v[163:164], v[94:95], v[96:97]
	v_fma_f64 v[165:166], v[128:129], s[6:7], v[22:23]
	v_add_f64 v[116:117], v[120:121], -v[116:117]
	v_add_f64 v[120:121], v[122:123], -v[124:125]
	v_add_f64 v[122:123], v[146:147], v[148:149]
	v_fma_f64 v[124:125], v[128:129], s[2:3], v[144:145]
	v_fma_f64 v[22:23], v[128:129], s[10:11], v[22:23]
	v_add_f64 v[128:129], v[154:155], v[94:95]
	v_fma_f64 v[144:145], v[163:164], -0.5, v[12:13]
	v_add_f64 v[118:119], v[118:119], -v[126:127]
	v_fma_f64 v[126:127], v[138:139], s[14:15], v[165:166]
	v_add_f64 v[116:117], v[116:117], v[120:121]
	v_fma_f64 v[120:121], v[122:123], s[4:5], v[140:141]
	v_fma_f64 v[122:123], v[122:123], s[4:5], v[124:125]
	;; [unrolled: 1-line block ×3, first 2 shown]
	v_add_f64 v[124:125], v[128:129], v[96:97]
	v_add_f64 v[128:129], v[92:93], v[100:101]
	v_fma_f64 v[138:139], v[118:119], s[10:11], v[144:145]
	v_add_f64 v[112:113], v[112:113], -v[114:115]
	v_fma_f64 v[114:115], v[116:117], s[4:5], v[126:127]
	v_add_f64 v[126:127], v[86:87], v[74:75]
	v_add_f64 v[140:141], v[92:93], -v[94:95]
	v_add_f64 v[146:147], v[100:101], -v[96:97]
	v_fma_f64 v[22:23], v[116:117], s[4:5], v[22:23]
	v_fma_f64 v[12:13], v[128:129], -0.5, v[12:13]
	v_add_f64 v[128:129], v[14:15], v[84:85]
	v_add_f64 v[116:117], v[124:125], v[100:101]
	v_fma_f64 v[124:125], v[112:113], s[14:15], v[138:139]
	v_fma_f64 v[126:127], v[126:127], -0.5, v[14:15]
	v_add_f64 v[108:109], v[108:109], -v[110:111]
	v_add_f64 v[110:111], v[140:141], v[146:147]
	v_fma_f64 v[138:139], v[118:119], s[6:7], v[144:145]
	v_fma_f64 v[140:141], v[112:113], s[6:7], v[12:13]
	v_add_f64 v[92:93], v[94:95], -v[92:93]
	v_add_f64 v[94:95], v[96:97], -v[100:101]
	v_fma_f64 v[12:13], v[112:113], s[10:11], v[12:13]
	v_add_f64 v[96:97], v[128:129], v[86:87]
	v_fma_f64 v[100:101], v[108:109], s[10:11], v[126:127]
	v_add_f64 v[98:99], v[98:99], -v[102:103]
	v_add_f64 v[102:103], v[84:85], -v[86:87]
	;; [unrolled: 1-line block ×3, first 2 shown]
	v_fma_f64 v[112:113], v[112:113], s[2:3], v[138:139]
	v_fma_f64 v[140:141], v[118:119], s[14:15], v[140:141]
	v_add_f64 v[92:93], v[92:93], v[94:95]
	v_fma_f64 v[12:13], v[118:119], s[2:3], v[12:13]
	v_add_f64 v[94:95], v[96:97], v[74:75]
	v_add_f64 v[138:139], v[84:85], v[78:79]
	v_fma_f64 v[96:97], v[98:99], s[14:15], v[100:101]
	v_add_f64 v[100:101], v[102:103], v[128:129]
	v_fma_f64 v[102:103], v[110:111], s[4:5], v[124:125]
	v_fma_f64 v[110:111], v[110:111], s[4:5], v[112:113]
	;; [unrolled: 1-line block ×4, first 2 shown]
	v_add_f64 v[12:13], v[70:71], v[82:83]
	v_add_f64 v[84:85], v[86:87], -v[84:85]
	v_add_f64 v[86:87], v[68:69], v[72:73]
	v_add_f64 v[94:95], v[94:95], v[78:79]
	v_add_f64 v[74:75], v[74:75], -v[78:79]
	v_add_f64 v[78:79], v[6:7], v[68:69]
	v_fma_f64 v[14:15], v[138:139], -0.5, v[14:15]
	v_fma_f64 v[118:119], v[108:109], s[6:7], v[126:127]
	v_fma_f64 v[12:13], v[12:13], -0.5, v[6:7]
	v_add_f64 v[76:77], v[76:77], -v[90:91]
	v_add_f64 v[80:81], v[80:81], -v[88:89]
	v_fma_f64 v[6:7], v[86:87], -0.5, v[6:7]
	v_add_f64 v[74:75], v[84:85], v[74:75]
	v_add_f64 v[78:79], v[78:79], v[70:71]
	v_fma_f64 v[124:125], v[98:99], s[6:7], v[14:15]
	v_fma_f64 v[90:91], v[98:99], s[2:3], v[118:119]
	;; [unrolled: 1-line block ×4, first 2 shown]
	v_add_f64 v[86:87], v[68:69], -v[70:71]
	v_add_f64 v[88:89], v[72:73], -v[82:83]
	v_fma_f64 v[12:13], v[76:77], s[6:7], v[12:13]
	v_fma_f64 v[98:99], v[80:81], s[6:7], v[6:7]
	v_add_f64 v[68:69], v[70:71], -v[68:69]
	v_add_f64 v[70:71], v[82:83], -v[72:73]
	v_fma_f64 v[6:7], v[80:81], s[10:11], v[6:7]
	v_add_f64 v[78:79], v[78:79], v[82:83]
	v_fma_f64 v[118:119], v[108:109], s[14:15], v[124:125]
	v_fma_f64 v[14:15], v[108:109], s[2:3], v[14:15]
	;; [unrolled: 1-line block ×3, first 2 shown]
	v_add_f64 v[84:85], v[86:87], v[88:89]
	v_fma_f64 v[80:81], v[80:81], s[2:3], v[12:13]
	v_fma_f64 v[86:87], v[76:77], s[14:15], v[98:99]
	v_add_f64 v[68:69], v[68:69], v[70:71]
	v_fma_f64 v[6:7], v[76:77], s[2:3], v[6:7]
	v_add_f64 v[72:73], v[78:79], v[72:73]
	v_fma_f64 v[96:97], v[100:101], s[4:5], v[96:97]
	v_fma_f64 v[76:77], v[100:101], s[4:5], v[90:91]
	;; [unrolled: 1-line block ×8, first 2 shown]
	s_waitcnt lgkmcnt(0)
	; wave barrier
	s_waitcnt lgkmcnt(0)
	ds_write2_b64 v28, v[130:131], v[134:135] offset1:8
	ds_write2_b64 v28, v[132:133], v[20:21] offset0:16 offset1:24
	ds_write_b64 v28, v[136:137] offset:256
	ds_write2_b64 v29, v[142:143], v[120:121] offset1:8
	ds_write2_b64 v29, v[114:115], v[22:23] offset0:16 offset1:24
	ds_write_b64 v29, v[122:123] offset:256
	;; [unrolled: 3-line block ×5, first 2 shown]
	v_add_u32_e32 v6, 0x800, v151
	v_add_u32_e32 v7, 0x1000, v151
	;; [unrolled: 1-line block ×3, first 2 shown]
	s_waitcnt lgkmcnt(0)
	; wave barrier
	s_waitcnt lgkmcnt(0)
	ds_read2_b64 v[28:31], v151 offset1:56
	ds_read2_b64 v[20:23], v151 offset0:112 offset1:200
	ds_read2_b64 v[100:103], v6 offset0:144 offset1:200
	ds_read2_b64 v[80:83], v7 offset1:88
	ds_read2_b64 v[96:99], v72 offset0:32 offset1:88
	ds_read2_b64 v[76:79], v72 offset0:144 offset1:232
	v_add_u32_e32 v72, 0x2000, v151
	ds_read2_b64 v[92:95], v72 offset0:176 offset1:232
	ds_read2_b64 v[88:91], v6 offset1:56
	ds_read2_b64 v[84:87], v7 offset0:144 offset1:200
	ds_read2_b64 v[72:75], v72 offset0:32 offset1:88
	ds_read_b64 v[110:111], v151 offset:10496
                                        ; implicit-def: $vgpr108_vgpr109
	s_and_saveexec_b64 s[2:3], vcc
	s_cbranch_execz .LBB0_39
; %bb.38:
	v_add_u32_e32 v4, 0x400, v151
	ds_read2_b64 v[12:15], v4 offset0:40 offset1:240
	v_add_u32_e32 v4, 0x1100, v151
	ds_read2_b64 v[68:71], v4 offset0:24 offset1:224
	;; [unrolled: 2-line block ×3, first 2 shown]
	ds_read_b64 v[108:109], v151 offset:10944
.LBB0_39:
	s_or_b64 exec, exec, s[2:3]
	v_subrev_u32_e32 v112, 40, v150
	v_cmp_gt_u32_e64 s[2:3], 40, v150
	v_cndmask_b32_e64 v140, v112, v150, s[2:3]
	v_mul_i32_i24_e32 v112, 6, v140
	v_mov_b32_e32 v113, 0
	v_lshlrev_b64 v[112:113], 4, v[112:113]
	v_mov_b32_e32 v114, s9
	v_add_co_u32_e64 v116, s[2:3], s8, v112
	v_addc_co_u32_e64 v117, s[2:3], v114, v113, s[2:3]
	s_movk_i32 s2, 0xcd
	global_load_dwordx4 v[112:115], v[116:117], off offset:624
	global_load_dwordx4 v[118:121], v[116:117], off offset:608
	;; [unrolled: 1-line block ×6, first 2 shown]
	v_mul_lo_u16_sdwa v116, v159, s2 dst_sel:DWORD dst_unused:UNUSED_PAD src0_sel:BYTE_0 src1_sel:DWORD
	v_lshrrev_b16_e32 v141, 13, v116
	v_mul_lo_u16_e32 v116, 40, v141
	v_sub_u16_e32 v142, v159, v116
	v_mov_b32_e32 v116, 6
	v_mul_u32_u24_sdwa v117, v142, v116 dst_sel:DWORD dst_unused:UNUSED_PAD src0_sel:BYTE_0 src1_sel:DWORD
	v_lshlrev_b32_e32 v117, 4, v117
	global_load_dwordx4 v[163:166], v117, s[8:9] offset:608
	global_load_dwordx4 v[167:170], v117, s[8:9] offset:624
	;; [unrolled: 1-line block ×6, first 2 shown]
	v_mul_lo_u16_sdwa v117, v160, s2 dst_sel:DWORD dst_unused:UNUSED_PAD src0_sel:BYTE_0 src1_sel:DWORD
	v_lshrrev_b16_e32 v143, 13, v117
	v_mul_lo_u16_e32 v117, 40, v143
	v_sub_u16_e32 v144, v160, v117
	v_mul_u32_u24_sdwa v116, v144, v116 dst_sel:DWORD dst_unused:UNUSED_PAD src0_sel:BYTE_0 src1_sel:DWORD
	v_lshlrev_b32_e32 v116, 4, v116
	global_load_dwordx4 v[187:190], v116, s[8:9] offset:608
	global_load_dwordx4 v[191:194], v116, s[8:9] offset:624
	;; [unrolled: 1-line block ×5, first 2 shown]
	v_mul_lo_u16_sdwa v117, v161, s2 dst_sel:DWORD dst_unused:UNUSED_PAD src0_sel:BYTE_0 src1_sel:DWORD
	v_lshrrev_b16_e32 v117, 13, v117
	v_mul_lo_u16_e32 v117, 40, v117
	v_sub_u16_e32 v117, v161, v117
	global_load_dwordx4 v[207:210], v116, s[8:9] offset:688
	v_and_b32_e32 v149, 0xff, v117
	v_mul_u32_u24_e32 v116, 6, v149
	v_lshlrev_b32_e32 v116, 4, v116
	global_load_dwordx4 v[211:214], v116, s[8:9] offset:608
	global_load_dwordx4 v[215:218], v116, s[8:9] offset:624
	;; [unrolled: 1-line block ×6, first 2 shown]
	s_mov_b32 s4, 0x36b3c0b5
	s_mov_b32 s14, 0xe976ee23
	;; [unrolled: 1-line block ×20, first 2 shown]
	v_cmp_lt_u32_e64 s[2:3], 39, v150
	s_waitcnt lgkmcnt(0)
	; wave barrier
	s_waitcnt vmcnt(23) lgkmcnt(0)
	v_mul_f64 v[122:123], v[100:101], v[114:115]
	s_waitcnt vmcnt(22)
	v_mul_f64 v[116:117], v[22:23], v[120:121]
	v_mul_f64 v[120:121], v[18:19], v[120:121]
	v_mul_f64 v[114:115], v[64:65], v[114:115]
	s_waitcnt vmcnt(20)
	v_mul_f64 v[124:125], v[82:83], v[128:129]
	v_mul_f64 v[128:129], v[46:47], v[128:129]
	v_mul_f64 v[134:135], v[96:97], v[132:133]
	s_waitcnt vmcnt(18)
	v_mul_f64 v[154:155], v[78:79], v[138:139]
	v_mul_f64 v[132:133], v[60:61], v[132:133]
	v_fma_f64 v[116:117], v[18:19], v[118:119], v[116:117]
	s_waitcnt vmcnt(15)
	v_mul_f64 v[239:240], v[84:85], v[173:174]
	v_mul_f64 v[173:174], v[48:49], v[173:174]
	s_waitcnt vmcnt(14)
	v_mul_f64 v[18:19], v[98:99], v[177:178]
	v_mul_f64 v[138:139], v[38:39], v[138:139]
	;; [unrolled: 1-line block ×4, first 2 shown]
	v_fma_f64 v[118:119], v[22:23], v[118:119], -v[120:121]
	v_mul_f64 v[22:23], v[62:63], v[177:178]
	v_fma_f64 v[120:121], v[64:65], v[112:113], v[122:123]
	v_fma_f64 v[122:123], v[100:101], v[112:113], -v[114:115]
	s_waitcnt vmcnt(13)
	v_mul_f64 v[64:65], v[72:73], v[181:182]
	v_fma_f64 v[124:125], v[46:47], v[126:127], v[124:125]
	v_fma_f64 v[126:127], v[82:83], v[126:127], -v[128:129]
	s_waitcnt vmcnt(12)
	v_mul_f64 v[46:47], v[94:95], v[185:186]
	v_fma_f64 v[128:129], v[60:61], v[130:131], v[134:135]
	v_fma_f64 v[134:135], v[38:39], v[136:137], v[154:155]
	v_fma_f64 v[100:101], v[84:85], v[171:172], -v[173:174]
	v_fma_f64 v[84:85], v[62:63], v[175:176], v[18:19]
	v_mul_f64 v[18:19], v[58:59], v[185:186]
	s_waitcnt vmcnt(11)
	v_mul_f64 v[38:39], v[90:91], v[189:190]
	v_mul_f64 v[235:236], v[88:89], v[165:166]
	;; [unrolled: 1-line block ×4, first 2 shown]
	v_fma_f64 v[130:131], v[96:97], v[130:131], -v[132:133]
	v_fma_f64 v[136:137], v[78:79], v[136:137], -v[138:139]
	;; [unrolled: 1-line block ×4, first 2 shown]
	v_fma_f64 v[92:93], v[40:41], v[179:180], v[64:65]
	v_fma_f64 v[96:97], v[58:59], v[183:184], v[46:47]
	v_mul_f64 v[22:23], v[54:55], v[189:190]
	s_waitcnt vmcnt(10)
	v_mul_f64 v[40:41], v[80:81], v[193:194]
	v_fma_f64 v[94:95], v[94:95], v[183:184], -v[18:19]
	v_fma_f64 v[18:19], v[54:55], v[187:188], v[38:39]
	v_mul_f64 v[38:39], v[44:45], v[193:194]
	s_waitcnt vmcnt(9)
	v_mul_f64 v[46:47], v[86:87], v[197:198]
	v_fma_f64 v[132:133], v[56:57], v[145:146], v[157:158]
	v_fma_f64 v[78:79], v[52:53], v[163:164], v[235:236]
	v_fma_f64 v[112:113], v[88:89], v[163:164], -v[165:166]
	v_fma_f64 v[88:89], v[48:49], v[171:172], v[239:240]
	v_fma_f64 v[114:115], v[72:73], v[179:180], -v[114:115]
	v_mul_f64 v[48:49], v[50:51], v[197:198]
	s_waitcnt vmcnt(8)
	v_mul_f64 v[52:53], v[76:77], v[201:202]
	v_fma_f64 v[56:57], v[90:91], v[187:188], -v[22:23]
	v_fma_f64 v[22:23], v[44:45], v[191:192], v[40:41]
	v_mul_f64 v[44:45], v[36:37], v[201:202]
	s_waitcnt vmcnt(7)
	v_mul_f64 v[54:55], v[74:75], v[205:206]
	v_fma_f64 v[72:73], v[80:81], v[191:192], -v[38:39]
	v_fma_f64 v[38:39], v[50:51], v[195:196], v[46:47]
	v_mul_f64 v[46:47], v[42:43], v[205:206]
	v_fma_f64 v[40:41], v[86:87], v[195:196], -v[48:49]
	v_fma_f64 v[36:37], v[36:37], v[199:200], v[52:53]
	s_waitcnt vmcnt(6)
	v_mul_f64 v[48:49], v[110:111], v[209:210]
	v_fma_f64 v[60:61], v[76:77], v[199:200], -v[44:45]
	v_fma_f64 v[54:55], v[42:43], v[203:204], v[54:55]
	v_mul_f64 v[42:43], v[106:107], v[209:210]
	s_waitcnt vmcnt(5)
	v_mul_f64 v[44:45], v[14:15], v[213:214]
	v_mul_f64 v[50:51], v[10:11], v[213:214]
	s_waitcnt vmcnt(4)
	v_mul_f64 v[52:53], v[68:69], v[217:218]
	v_fma_f64 v[74:75], v[74:75], v[203:204], -v[46:47]
	v_mul_f64 v[46:47], v[32:33], v[217:218]
	s_waitcnt vmcnt(3)
	v_mul_f64 v[58:59], v[70:71], v[221:222]
	v_fma_f64 v[62:63], v[106:107], v[207:208], v[48:49]
	v_fma_f64 v[76:77], v[110:111], v[207:208], -v[42:43]
	v_fma_f64 v[42:43], v[10:11], v[211:212], v[44:45]
	v_fma_f64 v[48:49], v[14:15], v[211:212], -v[50:51]
	v_fma_f64 v[44:45], v[32:33], v[215:216], v[52:53]
	v_mul_f64 v[10:11], v[34:35], v[221:222]
	s_waitcnt vmcnt(2)
	v_mul_f64 v[14:15], v[4:5], v[225:226]
	v_fma_f64 v[50:51], v[68:69], v[215:216], -v[46:47]
	v_fma_f64 v[46:47], v[34:35], v[219:220], v[58:59]
	v_add_f64 v[32:33], v[116:117], v[132:133]
	v_add_f64 v[34:35], v[120:121], v[134:135]
	v_mul_f64 v[64:65], v[0:1], v[225:226]
	v_mul_f64 v[237:238], v[102:103], v[169:170]
	v_fma_f64 v[52:53], v[70:71], v[219:220], -v[10:11]
	v_fma_f64 v[58:59], v[0:1], v[223:224], v[14:15]
	v_add_f64 v[0:1], v[122:123], -v[136:137]
	v_add_f64 v[10:11], v[124:125], v[128:129]
	v_add_f64 v[14:15], v[130:131], -v[126:127]
	v_add_f64 v[68:69], v[34:35], v[32:33]
	v_add_f64 v[70:71], v[118:119], -v[138:139]
	v_add_f64 v[90:91], v[34:35], -v[32:33]
	v_mul_f64 v[169:170], v[66:67], v[169:170]
	v_fma_f64 v[82:83], v[66:67], v[167:168], v[237:238]
	s_waitcnt vmcnt(0)
	v_mul_f64 v[66:67], v[6:7], v[233:234]
	v_add_f64 v[32:33], v[32:33], -v[10:11]
	v_add_f64 v[80:81], v[14:15], v[0:1]
	v_add_f64 v[68:69], v[10:11], v[68:69]
	v_add_f64 v[10:11], v[10:11], -v[34:35]
	v_add_f64 v[34:35], v[14:15], -v[0:1]
	;; [unrolled: 1-line block ×4, first 2 shown]
	v_fma_f64 v[102:103], v[102:103], v[167:168], -v[169:170]
	v_mul_f64 v[32:33], v[32:33], s[6:7]
	v_add_f64 v[70:71], v[80:81], v[70:71]
	v_add_f64 v[24:25], v[24:25], v[68:69]
	v_mul_f64 v[80:81], v[10:11], s[4:5]
	v_mul_f64 v[34:35], v[34:35], s[14:15]
	v_fma_f64 v[64:65], v[4:5], v[223:224], -v[64:65]
	v_mul_f64 v[106:107], v[0:1], s[10:11]
	v_fma_f64 v[66:67], v[2:3], v[231:232], v[66:67]
	v_mul_f64 v[2:3], v[2:3], v[233:234]
	v_mul_f64 v[4:5], v[108:109], v[229:230]
	v_fma_f64 v[68:69], v[68:69], s[16:17], v[24:25]
	v_fma_f64 v[80:81], v[90:91], s[18:19], -v[80:81]
	v_fma_f64 v[0:1], v[0:1], s[10:11], -v[34:35]
	v_mul_f64 v[86:87], v[104:105], v[229:230]
	v_fma_f64 v[10:11], v[10:11], s[4:5], v[32:33]
	v_fma_f64 v[32:33], v[90:91], s[20:21], -v[32:33]
	v_fma_f64 v[90:91], v[14:15], s[22:23], v[34:35]
	v_fma_f64 v[14:15], v[14:15], s[26:27], -v[106:107]
	v_add_f64 v[106:107], v[78:79], v[96:97]
	v_add_f64 v[34:35], v[80:81], v[68:69]
	;; [unrolled: 1-line block ×3, first 2 shown]
	v_fma_f64 v[0:1], v[70:71], s[24:25], v[0:1]
	v_add_f64 v[10:11], v[10:11], v[68:69]
	v_add_f64 v[32:33], v[32:33], v[68:69]
	v_fma_f64 v[90:91], v[70:71], s[24:25], v[90:91]
	v_fma_f64 v[14:15], v[70:71], s[24:25], v[14:15]
	v_fma_f64 v[68:69], v[6:7], v[231:232], -v[2:3]
	v_fma_f64 v[80:81], v[104:105], v[227:228], v[4:5]
	v_fma_f64 v[86:87], v[108:109], v[227:228], -v[86:87]
	v_add_f64 v[6:7], v[88:89], v[84:85]
	v_add_f64 v[70:71], v[110:111], v[106:107]
	v_add_f64 v[104:105], v[34:35], -v[0:1]
	v_add_f64 v[108:109], v[102:103], -v[114:115]
	;; [unrolled: 1-line block ×3, first 2 shown]
	v_add_f64 v[0:1], v[0:1], v[34:35]
	v_add_f64 v[34:35], v[112:113], -v[94:95]
	v_add_f64 v[2:3], v[90:91], v[10:11]
	v_add_f64 v[4:5], v[14:15], v[32:33]
	v_add_f64 v[14:15], v[32:33], -v[14:15]
	v_add_f64 v[10:11], v[10:11], -v[90:91]
	v_add_f64 v[32:33], v[6:7], v[70:71]
	v_add_f64 v[70:71], v[106:107], -v[6:7]
	v_add_f64 v[6:7], v[6:7], -v[110:111]
	;; [unrolled: 3-line block ×3, first 2 shown]
	v_add_f64 v[106:107], v[110:111], -v[106:107]
	v_add_f64 v[110:111], v[34:35], -v[145:146]
	v_add_f64 v[26:27], v[26:27], v[32:33]
	v_mul_f64 v[70:71], v[70:71], s[6:7]
	v_mul_f64 v[145:146], v[6:7], s[4:5]
	v_add_f64 v[34:35], v[90:91], v[34:35]
	v_mul_f64 v[90:91], v[147:148], s[14:15]
	v_mul_f64 v[147:148], v[108:109], s[10:11]
	v_add_f64 v[154:155], v[18:19], v[62:63]
	v_add_f64 v[157:158], v[22:23], v[54:55]
	v_fma_f64 v[32:33], v[32:33], s[16:17], v[26:27]
	v_fma_f64 v[6:7], v[6:7], s[4:5], v[70:71]
	v_fma_f64 v[145:146], v[106:107], s[18:19], -v[145:146]
	v_fma_f64 v[70:71], v[106:107], s[20:21], -v[70:71]
	v_fma_f64 v[106:107], v[110:111], s[22:23], v[90:91]
	v_fma_f64 v[90:91], v[108:109], s[10:11], -v[90:91]
	v_add_f64 v[108:109], v[38:39], v[36:37]
	v_add_f64 v[163:164], v[157:158], v[154:155]
	v_fma_f64 v[110:111], v[110:111], s[26:27], -v[147:148]
	v_add_f64 v[147:148], v[72:73], -v[74:75]
	v_add_f64 v[165:166], v[60:61], -v[40:41]
	v_add_f64 v[167:168], v[56:57], -v[76:77]
	v_add_f64 v[6:7], v[6:7], v[32:33]
	v_add_f64 v[145:146], v[145:146], v[32:33]
	;; [unrolled: 1-line block ×4, first 2 shown]
	v_add_f64 v[163:164], v[154:155], -v[108:109]
	v_add_f64 v[108:109], v[108:109], -v[157:158]
	;; [unrolled: 1-line block ×5, first 2 shown]
	v_add_f64 v[147:148], v[165:166], v[147:148]
	v_add_f64 v[165:166], v[167:168], -v[165:166]
	v_add_f64 v[16:17], v[16:17], v[70:71]
	v_mul_f64 v[157:158], v[163:164], s[6:7]
	v_mul_f64 v[163:164], v[108:109], s[4:5]
	;; [unrolled: 1-line block ×4, first 2 shown]
	v_fma_f64 v[106:107], v[34:35], s[24:25], v[106:107]
	v_add_f64 v[147:148], v[147:148], v[167:168]
	v_fma_f64 v[90:91], v[34:35], s[24:25], v[90:91]
	v_fma_f64 v[70:71], v[70:71], s[16:17], v[16:17]
	;; [unrolled: 1-line block ×3, first 2 shown]
	v_fma_f64 v[163:164], v[154:155], s[18:19], -v[163:164]
	v_fma_f64 v[154:155], v[154:155], s[20:21], -v[157:158]
	v_fma_f64 v[157:158], v[165:166], s[22:23], v[169:170]
	v_fma_f64 v[165:166], v[165:166], s[26:27], -v[173:174]
	v_fma_f64 v[167:168], v[171:172], s[10:11], -v[169:170]
	v_fma_f64 v[34:35], v[34:35], s[24:25], v[110:111]
	v_add_f64 v[110:111], v[106:107], v[6:7]
	v_add_f64 v[108:109], v[108:109], v[70:71]
	;; [unrolled: 1-line block ×4, first 2 shown]
	v_fma_f64 v[154:155], v[147:148], s[24:25], v[157:158]
	v_fma_f64 v[157:158], v[147:148], s[24:25], v[165:166]
	;; [unrolled: 1-line block ×3, first 2 shown]
	v_add_f64 v[165:166], v[34:35], v[32:33]
	v_add_f64 v[32:33], v[32:33], -v[34:35]
	v_add_f64 v[167:168], v[145:146], -v[90:91]
	v_add_f64 v[145:146], v[90:91], v[145:146]
	v_add_f64 v[6:7], v[6:7], -v[106:107]
	v_add_f64 v[34:35], v[154:155], v[108:109]
	v_add_f64 v[106:107], v[157:158], v[70:71]
	v_add_f64 v[169:170], v[163:164], -v[147:148]
	v_mov_b32_e32 v90, 0x8c0
	v_add_f64 v[147:148], v[147:148], v[163:164]
	v_add_f64 v[70:71], v[70:71], -v[157:158]
	v_cndmask_b32_e64 v90, 0, v90, s[2:3]
	v_lshlrev_b32_e32 v91, 3, v140
	v_add_f64 v[108:109], v[108:109], -v[154:155]
	v_add3_u32 v91, 0, v90, v91
	ds_write2_b64 v91, v[24:25], v[2:3] offset1:40
	ds_write2_b64 v91, v[4:5], v[104:105] offset0:80 offset1:120
	ds_write2_b64 v91, v[0:1], v[14:15] offset0:160 offset1:200
	ds_write_b64 v91, v[10:11] offset:1920
	v_mov_b32_e32 v1, 3
	v_mul_u32_u24_e32 v0, 0x8c0, v141
	v_lshlrev_b32_sdwa v2, v1, v142 dst_sel:DWORD dst_unused:UNUSED_PAD src0_sel:DWORD src1_sel:BYTE_0
	v_add3_u32 v104, 0, v0, v2
	v_mul_u32_u24_e32 v0, 0x8c0, v143
	v_lshlrev_b32_sdwa v1, v1, v144 dst_sel:DWORD dst_unused:UNUSED_PAD src0_sel:DWORD src1_sel:BYTE_0
	v_add3_u32 v105, 0, v0, v1
	v_lshl_add_u32 v90, v149, 3, 0
	ds_write2_b64 v104, v[26:27], v[110:111] offset1:40
	ds_write2_b64 v104, v[165:166], v[167:168] offset0:80 offset1:120
	ds_write2_b64 v104, v[145:146], v[32:33] offset0:160 offset1:200
	ds_write_b64 v104, v[6:7] offset:1920
	ds_write2_b64 v105, v[16:17], v[34:35] offset1:40
	ds_write2_b64 v105, v[106:107], v[169:170] offset0:80 offset1:120
	ds_write2_b64 v105, v[147:148], v[70:71] offset0:160 offset1:200
	ds_write_b64 v105, v[108:109] offset:1920
	s_and_saveexec_b64 s[2:3], vcc
	s_cbranch_execz .LBB0_41
; %bb.40:
	v_add_f64 v[0:1], v[42:43], v[80:81]
	v_add_f64 v[2:3], v[44:45], v[66:67]
	v_add_f64 v[4:5], v[64:65], -v[52:53]
	v_add_f64 v[6:7], v[50:51], -v[68:69]
	v_add_f64 v[10:11], v[46:47], v[58:59]
	v_add_f64 v[14:15], v[48:49], -v[86:87]
	v_add_f64 v[16:17], v[2:3], v[0:1]
	v_add_f64 v[24:25], v[4:5], -v[6:7]
	v_add_f64 v[26:27], v[0:1], -v[10:11]
	;; [unrolled: 1-line block ×5, first 2 shown]
	v_add_f64 v[10:11], v[10:11], v[16:17]
	v_add_f64 v[16:17], v[14:15], -v[4:5]
	v_add_f64 v[4:5], v[4:5], v[6:7]
	v_mul_f64 v[2:3], v[24:25], s[14:15]
	v_mul_f64 v[6:7], v[26:27], s[6:7]
	;; [unrolled: 1-line block ×4, first 2 shown]
	v_add_f64 v[8:9], v[8:9], v[10:11]
	v_add_f64 v[4:5], v[4:5], v[14:15]
	v_fma_f64 v[14:15], v[16:17], s[22:23], v[2:3]
	v_fma_f64 v[70:71], v[0:1], s[20:21], -v[6:7]
	v_fma_f64 v[6:7], v[34:35], s[4:5], v[6:7]
	v_fma_f64 v[16:17], v[16:17], s[26:27], -v[24:25]
	v_fma_f64 v[2:3], v[32:33], s[10:11], -v[2:3]
	v_fma_f64 v[10:11], v[10:11], s[16:17], v[8:9]
	v_fma_f64 v[0:1], v[0:1], s[18:19], -v[26:27]
	v_fma_f64 v[14:15], v[4:5], s[24:25], v[14:15]
	v_fma_f64 v[16:17], v[4:5], s[24:25], v[16:17]
	;; [unrolled: 1-line block ×3, first 2 shown]
	v_add_f64 v[6:7], v[6:7], v[10:11]
	v_add_f64 v[4:5], v[70:71], v[10:11]
	;; [unrolled: 1-line block ×4, first 2 shown]
	v_add_f64 v[10:11], v[4:5], -v[16:17]
	v_add_f64 v[24:25], v[0:1], -v[2:3]
	v_add_f64 v[4:5], v[16:17], v[4:5]
	v_add_f64 v[0:1], v[2:3], v[0:1]
	v_add_f64 v[2:3], v[6:7], -v[14:15]
	v_add_u32_e32 v6, 0x2000, v90
	v_add_u32_e32 v7, 0x2800, v90
	ds_write2_b64 v6, v[8:9], v[26:27] offset0:96 offset1:136
	ds_write2_b64 v6, v[4:5], v[24:25] offset0:176 offset1:216
	ds_write2_b64 v7, v[0:1], v[10:11] offset1:40
	ds_write_b64 v90, v[2:3] offset:10880
.LBB0_41:
	s_or_b64 exec, exec, s[2:3]
	v_add_f64 v[0:1], v[118:119], v[138:139]
	v_add_f64 v[2:3], v[122:123], v[136:137]
	v_add_f64 v[4:5], v[120:121], -v[134:135]
	v_add_f64 v[6:7], v[126:127], v[130:131]
	v_add_f64 v[8:9], v[128:129], -v[124:125]
	v_add_f64 v[10:11], v[116:117], -v[132:133]
	v_add_f64 v[26:27], v[112:113], v[94:95]
	v_add_f64 v[34:35], v[102:103], v[114:115]
	v_add_f64 v[18:19], v[18:19], -v[62:63]
	v_add_f64 v[14:15], v[2:3], v[0:1]
	s_waitcnt lgkmcnt(0)
	v_add_f64 v[16:17], v[0:1], -v[6:7]
	v_add_f64 v[24:25], v[8:9], -v[4:5]
	v_add_f64 v[32:33], v[4:5], -v[10:11]
	v_add_f64 v[4:5], v[8:9], v[4:5]
	v_add_f64 v[8:9], v[10:11], -v[8:9]
	v_add_f64 v[0:1], v[2:3], -v[0:1]
	v_add_f64 v[14:15], v[6:7], v[14:15]
	v_add_f64 v[6:7], v[6:7], -v[2:3]
	v_mul_f64 v[16:17], v[16:17], s[6:7]
	v_mul_f64 v[24:25], v[24:25], s[14:15]
	;; [unrolled: 1-line block ×3, first 2 shown]
	v_add_f64 v[4:5], v[4:5], v[10:11]
	; wave barrier
	v_add_f64 v[94:95], v[28:29], v[14:15]
	v_mul_f64 v[2:3], v[6:7], s[4:5]
	v_fma_f64 v[6:7], v[6:7], s[4:5], v[16:17]
	v_fma_f64 v[10:11], v[8:9], s[22:23], v[24:25]
	v_fma_f64 v[24:25], v[32:33], s[10:11], -v[24:25]
	v_fma_f64 v[8:9], v[8:9], s[26:27], -v[70:71]
	;; [unrolled: 1-line block ×3, first 2 shown]
	v_add_f64 v[28:29], v[34:35], v[26:27]
	v_fma_f64 v[14:15], v[14:15], s[16:17], v[94:95]
	v_fma_f64 v[0:1], v[0:1], s[18:19], -v[2:3]
	v_add_f64 v[2:3], v[100:101], v[98:99]
	v_fma_f64 v[10:11], v[4:5], s[24:25], v[10:11]
	v_fma_f64 v[24:25], v[4:5], s[24:25], v[24:25]
	;; [unrolled: 1-line block ×3, first 2 shown]
	v_add_f64 v[32:33], v[84:85], -v[88:89]
	v_add_f64 v[6:7], v[6:7], v[14:15]
	v_add_f64 v[8:9], v[16:17], v[14:15]
	v_add_f64 v[0:1], v[0:1], v[14:15]
	v_add_f64 v[14:15], v[78:79], -v[96:97]
	v_add_f64 v[16:17], v[82:83], -v[92:93]
	;; [unrolled: 1-line block ×3, first 2 shown]
	v_add_f64 v[28:29], v[2:3], v[28:29]
	v_add_f64 v[78:79], v[6:7], -v[10:11]
	v_add_f64 v[82:83], v[8:9], -v[4:5]
	v_add_f64 v[84:85], v[24:25], v[0:1]
	v_add_f64 v[88:89], v[0:1], -v[24:25]
	v_add_f64 v[92:93], v[4:5], v[8:9]
	v_add_f64 v[96:97], v[10:11], v[6:7]
	v_add_f64 v[0:1], v[2:3], -v[34:35]
	v_add_f64 v[2:3], v[32:33], v[16:17]
	v_add_f64 v[4:5], v[32:33], -v[16:17]
	v_add_f64 v[6:7], v[16:17], -v[14:15]
	;; [unrolled: 1-line block ×4, first 2 shown]
	v_add_f64 v[98:99], v[30:31], v[28:29]
	v_mul_f64 v[16:17], v[70:71], s[6:7]
	v_mul_f64 v[24:25], v[0:1], s[4:5]
	v_add_f64 v[2:3], v[2:3], v[14:15]
	v_mul_f64 v[4:5], v[4:5], s[14:15]
	v_mul_f64 v[14:15], v[6:7], s[10:11]
	v_add_f64 v[26:27], v[56:57], v[76:77]
	v_add_f64 v[30:31], v[72:73], v[74:75]
	v_fma_f64 v[28:29], v[28:29], s[16:17], v[98:99]
	v_fma_f64 v[0:1], v[0:1], s[4:5], v[16:17]
	v_fma_f64 v[24:25], v[8:9], s[18:19], -v[24:25]
	v_fma_f64 v[8:9], v[8:9], s[20:21], -v[16:17]
	v_fma_f64 v[16:17], v[10:11], s[22:23], v[4:5]
	v_fma_f64 v[4:5], v[6:7], s[10:11], -v[4:5]
	v_add_f64 v[6:7], v[40:41], v[60:61]
	v_add_f64 v[32:33], v[30:31], v[26:27]
	v_fma_f64 v[10:11], v[10:11], s[26:27], -v[14:15]
	v_add_f64 v[14:15], v[22:23], -v[54:55]
	v_add_f64 v[22:23], v[36:37], -v[38:39]
	v_add_f64 v[0:1], v[0:1], v[28:29]
	v_add_f64 v[24:25], v[24:25], v[28:29]
	;; [unrolled: 1-line block ×3, first 2 shown]
	v_fma_f64 v[16:17], v[2:3], s[24:25], v[16:17]
	v_add_f64 v[28:29], v[6:7], v[32:33]
	v_add_f64 v[32:33], v[26:27], -v[6:7]
	v_add_f64 v[6:7], v[6:7], -v[30:31]
	;; [unrolled: 1-line block ×5, first 2 shown]
	v_add_f64 v[14:15], v[22:23], v[14:15]
	v_add_f64 v[22:23], v[18:19], -v[22:23]
	v_add_f64 v[72:73], v[20:21], v[28:29]
	v_mul_f64 v[20:21], v[32:33], s[6:7]
	v_mul_f64 v[30:31], v[6:7], s[4:5]
	;; [unrolled: 1-line block ×4, first 2 shown]
	v_fma_f64 v[4:5], v[2:3], s[24:25], v[4:5]
	v_add_f64 v[14:15], v[14:15], v[18:19]
	v_fma_f64 v[2:3], v[2:3], s[24:25], v[10:11]
	v_fma_f64 v[18:19], v[28:29], s[16:17], v[72:73]
	;; [unrolled: 1-line block ×3, first 2 shown]
	v_fma_f64 v[28:29], v[26:27], s[18:19], -v[30:31]
	v_fma_f64 v[20:21], v[26:27], s[20:21], -v[20:21]
	v_fma_f64 v[26:27], v[22:23], s[22:23], v[32:33]
	v_fma_f64 v[22:23], v[22:23], s[26:27], -v[34:35]
	v_fma_f64 v[30:31], v[36:37], s[10:11], -v[32:33]
	v_add_f64 v[76:77], v[8:9], -v[2:3]
	v_add_f64 v[100:101], v[4:5], v[24:25]
	v_add_f64 v[6:7], v[6:7], v[18:19]
	;; [unrolled: 1-line block ×4, first 2 shown]
	v_fma_f64 v[20:21], v[14:15], s[24:25], v[26:27]
	v_fma_f64 v[22:23], v[14:15], s[24:25], v[22:23]
	;; [unrolled: 1-line block ×3, first 2 shown]
	v_add_f64 v[102:103], v[24:25], -v[4:5]
	v_add_f64 v[106:107], v[2:3], v[8:9]
	v_add_u32_e32 v4, 0x400, v151
	v_add_u32_e32 v34, 0x1000, v151
	;; [unrolled: 1-line block ×5, first 2 shown]
	v_add_f64 v[74:75], v[0:1], -v[16:17]
	v_add_f64 v[108:109], v[16:17], v[0:1]
	v_add_f64 v[110:111], v[6:7], -v[20:21]
	v_add_f64 v[112:113], v[18:19], -v[22:23]
	v_add_f64 v[114:115], v[14:15], v[10:11]
	v_add_f64 v[116:117], v[10:11], -v[14:15]
	v_add_f64 v[118:119], v[22:23], v[18:19]
	v_add_f64 v[120:121], v[20:21], v[6:7]
	ds_read2_b64 v[0:3], v151 offset1:56
	ds_read2_b64 v[4:7], v4 offset0:96 offset1:152
	ds_read2_b64 v[14:17], v34 offset0:48 offset1:104
	ds_read2_b64 v[18:21], v26 offset0:16 offset1:72
	ds_read2_b64 v[8:11], v8 offset0:96 offset1:152
	ds_read2_b64 v[22:25], v35 offset0:80 offset1:136
	ds_read2_b64 v[26:29], v26 offset0:128 offset1:184
	ds_read2_b64 v[30:33], v151 offset0:112 offset1:168
	ds_read2_b64 v[60:63], v34 offset0:160 offset1:216
	v_add_u32_e32 v34, 0x2400, v151
	v_add_u32_e32 v38, 0x1c00, v151
	ds_read2_b64 v[54:57], v34 offset0:80 offset1:136
	ds_read2_b64 v[34:37], v35 offset0:192 offset1:248
	ds_read2_b64 v[38:41], v38 offset0:112 offset1:168
	ds_read_b64 v[70:71], v151 offset:10752
	s_waitcnt lgkmcnt(0)
	; wave barrier
	s_waitcnt lgkmcnt(0)
	ds_write2_b64 v91, v[94:95], v[78:79] offset1:40
	ds_write2_b64 v91, v[82:83], v[84:85] offset0:80 offset1:120
	ds_write2_b64 v91, v[88:89], v[92:93] offset0:160 offset1:200
	ds_write_b64 v91, v[96:97] offset:1920
	ds_write2_b64 v104, v[98:99], v[74:75] offset1:40
	ds_write2_b64 v104, v[76:77], v[100:101] offset0:80 offset1:120
	ds_write2_b64 v104, v[102:103], v[106:107] offset0:160 offset1:200
	ds_write_b64 v104, v[108:109] offset:1920
	;; [unrolled: 4-line block ×3, first 2 shown]
	s_and_saveexec_b64 s[2:3], vcc
	s_cbranch_execz .LBB0_43
; %bb.42:
	v_add_f64 v[48:49], v[48:49], v[86:87]
	v_add_f64 v[50:51], v[50:51], v[68:69]
	;; [unrolled: 1-line block ×3, first 2 shown]
	v_add_f64 v[46:47], v[58:59], -v[46:47]
	v_add_f64 v[44:45], v[44:45], -v[66:67]
	v_add_f64 v[42:43], v[42:43], -v[80:81]
	s_mov_b32 s6, 0x36b3c0b5
	s_mov_b32 s4, 0x37e14327
	;; [unrolled: 1-line block ×3, first 2 shown]
	v_add_f64 v[58:59], v[50:51], v[48:49]
	v_add_f64 v[64:65], v[48:49], -v[52:53]
	s_mov_b32 s5, 0x3fe948f6
	v_add_f64 v[66:67], v[46:47], v[44:45]
	v_add_f64 v[68:69], v[46:47], -v[44:45]
	v_add_f64 v[44:45], v[44:45], -v[42:43]
	s_mov_b32 s10, 0xe976ee23
	v_add_f64 v[48:49], v[50:51], -v[48:49]
	v_add_f64 v[58:59], v[52:53], v[58:59]
	v_add_f64 v[52:53], v[52:53], -v[50:51]
	s_mov_b32 s11, 0x3fe11646
	s_mov_b32 s14, 0x429ad128
	v_mul_f64 v[64:65], v[64:65], s[4:5]
	s_mov_b32 s15, 0xbfebfeb5
	v_add_f64 v[46:47], v[42:43], -v[46:47]
	v_add_f64 v[42:43], v[66:67], v[42:43]
	v_add_f64 v[12:13], v[12:13], v[58:59]
	v_mul_f64 v[50:51], v[52:53], s[6:7]
	v_mul_f64 v[66:67], v[68:69], s[10:11]
	;; [unrolled: 1-line block ×3, first 2 shown]
	s_mov_b32 s5, 0x3fe77f67
	s_mov_b32 s4, 0x5476071b
	v_fma_f64 v[52:53], v[52:53], s[6:7], v[64:65]
	v_fma_f64 v[58:59], v[58:59], s[16:17], v[12:13]
	v_fma_f64 v[50:51], v[48:49], s[4:5], -v[50:51]
	s_mov_b32 s5, 0xbfe77f67
	v_fma_f64 v[48:49], v[48:49], s[4:5], -v[64:65]
	s_mov_b32 s5, 0xbfd5d0dc
	s_mov_b32 s4, 0xb247c609
	v_fma_f64 v[64:65], v[46:47], s[4:5], v[66:67]
	s_mov_b32 s5, 0x3fd5d0dc
	v_fma_f64 v[46:47], v[46:47], s[4:5], -v[68:69]
	v_fma_f64 v[44:45], v[44:45], s[14:15], -v[66:67]
	s_mov_b32 s4, 0x37c3f68c
	s_mov_b32 s5, 0xbfdc38aa
	v_add_f64 v[52:53], v[52:53], v[58:59]
	v_add_f64 v[50:51], v[50:51], v[58:59]
	;; [unrolled: 1-line block ×3, first 2 shown]
	v_fma_f64 v[58:59], v[42:43], s[4:5], v[64:65]
	v_fma_f64 v[46:47], v[42:43], s[4:5], v[46:47]
	;; [unrolled: 1-line block ×3, first 2 shown]
	v_add_f64 v[44:45], v[52:53], -v[58:59]
	v_add_f64 v[64:65], v[48:49], -v[46:47]
	v_add_f64 v[66:67], v[42:43], v[50:51]
	v_add_f64 v[42:43], v[50:51], -v[42:43]
	v_add_f64 v[46:47], v[46:47], v[48:49]
	v_add_f64 v[48:49], v[58:59], v[52:53]
	v_add_u32_e32 v50, 0x2000, v90
	ds_write2_b64 v50, v[12:13], v[44:45] offset0:96 offset1:136
	ds_write2_b64 v50, v[64:65], v[66:67] offset0:176 offset1:216
	v_add_u32_e32 v12, 0x2800, v90
	ds_write2_b64 v12, v[42:43], v[46:47] offset1:40
	ds_write_b64 v90, v[48:49] offset:10880
.LBB0_43:
	s_or_b64 exec, exec, s[2:3]
	s_waitcnt lgkmcnt(0)
	; wave barrier
	s_waitcnt lgkmcnt(0)
	s_and_saveexec_b64 s[2:3], s[0:1]
	s_cbranch_execz .LBB0_45
; %bb.44:
	v_lshlrev_b32_e32 v80, 2, v162
	v_mov_b32_e32 v81, 0
	v_lshlrev_b64 v[12:13], 4, v[80:81]
	v_lshlrev_b32_e32 v80, 2, v161
	v_lshlrev_b64 v[50:51], 4, v[80:81]
	v_mov_b32_e32 v82, s9
	v_add_co_u32_e32 v42, vcc, s8, v12
	v_add_co_u32_e64 v52, s[0:1], s8, v50
	v_addc_co_u32_e32 v59, vcc, v82, v13, vcc
	s_movk_i32 s14, 0x1160
	v_addc_co_u32_e64 v53, s[0:1], v82, v51, s[0:1]
	v_add_co_u32_e32 v12, vcc, 0x1160, v42
	v_add_co_u32_e64 v50, s[0:1], s14, v52
	v_addc_co_u32_e32 v13, vcc, 0, v59, vcc
	s_movk_i32 s9, 0x1000
	v_addc_co_u32_e64 v51, s[0:1], 0, v53, s[0:1]
	v_add_co_u32_e32 v58, vcc, 0x1000, v42
	v_add_co_u32_e64 v52, s[0:1], s9, v52
	v_addc_co_u32_e64 v53, s[0:1], 0, v53, s[0:1]
	v_addc_co_u32_e32 v59, vcc, 0, v59, vcc
	global_load_dwordx4 v[42:45], v[12:13], off offset:32
	global_load_dwordx4 v[46:49], v[12:13], off offset:16
	;; [unrolled: 1-line block ×6, first 2 shown]
	s_nop 0
	global_load_dwordx4 v[50:53], v[58:59], off offset:352
	global_load_dwordx4 v[96:99], v[12:13], off offset:48
	v_add_u32_e32 v140, 0x1800, v151
	v_add_u32_e32 v141, 0x800, v151
	;; [unrolled: 1-line block ×3, first 2 shown]
	ds_read_b64 v[12:13], v151 offset:10752
	v_add_u32_e32 v59, 0x400, v151
	ds_read2_b64 v[66:69], v140 offset0:16 offset1:72
	ds_read2_b64 v[100:103], v141 offset0:192 offset1:248
	;; [unrolled: 1-line block ×4, first 2 shown]
	v_lshlrev_b32_e32 v80, 2, v160
	v_lshlrev_b64 v[58:59], 4, v[80:81]
	v_add_u32_e32 v83, 0x1000, v151
	v_add_u32_e32 v64, 0x2400, v151
	v_add_co_u32_e32 v80, vcc, s8, v58
	ds_read2_b64 v[108:111], v83 offset0:160 offset1:216
	ds_read2_b64 v[112:115], v64 offset0:80 offset1:136
	v_addc_co_u32_e32 v142, vcc, v82, v59, vcc
	s_mov_b32 s6, 0x134454ff
	s_mov_b32 s7, 0x3fee6f0e
	;; [unrolled: 1-line block ×10, first 2 shown]
	s_waitcnt vmcnt(5)
	v_mul_f64 v[116:117], v[34:35], v[78:79]
	v_mul_f64 v[64:65], v[40:41], v[44:45]
	;; [unrolled: 1-line block ×3, first 2 shown]
	s_waitcnt lgkmcnt(5)
	v_mul_f64 v[48:49], v[66:67], v[48:49]
	s_waitcnt lgkmcnt(3)
	v_mul_f64 v[44:45], v[106:107], v[44:45]
	s_waitcnt vmcnt(1)
	v_mul_f64 v[120:121], v[36:37], v[52:53]
	s_waitcnt vmcnt(0)
	v_mul_f64 v[122:123], v[70:71], v[98:99]
	v_mul_f64 v[52:53], v[102:103], v[52:53]
	;; [unrolled: 1-line block ×4, first 2 shown]
	v_fma_f64 v[58:59], v[46:47], v[66:67], -v[58:59]
	v_fma_f64 v[18:19], v[18:19], v[46:47], v[48:49]
	v_fma_f64 v[46:47], v[40:41], v[42:43], v[44:45]
	v_fma_f64 v[40:41], v[42:43], v[106:107], -v[64:65]
	v_fma_f64 v[42:43], v[50:51], v[102:103], -v[120:121]
	;; [unrolled: 1-line block ×3, first 2 shown]
	v_fma_f64 v[50:51], v[36:37], v[50:51], v[52:53]
	v_fma_f64 v[66:67], v[70:71], v[96:97], v[98:99]
	v_fma_f64 v[64:65], v[76:77], v[100:101], -v[116:117]
	s_waitcnt lgkmcnt(0)
	v_fma_f64 v[106:107], v[84:85], v[114:115], -v[118:119]
	v_add_f64 v[36:37], v[18:19], -v[46:47]
	v_add_f64 v[44:45], v[58:59], v[40:41]
	v_add_f64 v[120:121], v[42:43], v[72:73]
	;; [unrolled: 1-line block ×3, first 2 shown]
	v_add_f64 v[70:71], v[58:59], -v[40:41]
	v_add_f64 v[122:123], v[50:51], v[66:67]
	v_add_f64 v[98:99], v[50:51], -v[66:67]
	v_add_f64 v[48:49], v[58:59], -v[42:43]
	;; [unrolled: 1-line block ×3, first 2 shown]
	v_fma_f64 v[44:45], v[44:45], -0.5, v[72:73]
	v_add_f64 v[58:59], v[58:59], v[120:121]
	v_fma_f64 v[72:73], v[96:97], -0.5, v[72:73]
	v_add_f64 v[52:53], v[40:41], -v[12:13]
	v_fma_f64 v[120:121], v[122:123], -0.5, v[4:5]
	v_add_f64 v[118:119], v[12:13], -v[40:41]
	v_add_f64 v[42:43], v[42:43], -v[12:13]
	;; [unrolled: 1-line block ×3, first 2 shown]
	v_fma_f64 v[122:123], v[98:99], s[10:11], v[44:45]
	v_fma_f64 v[44:45], v[98:99], s[6:7], v[44:45]
	;; [unrolled: 1-line block ×4, first 2 shown]
	v_add_f64 v[40:41], v[40:41], v[58:59]
	v_fma_f64 v[58:59], v[70:71], s[10:11], v[120:121]
	v_add_f64 v[134:135], v[48:49], v[52:53]
	v_add_f64 v[48:49], v[116:117], v[118:119]
	v_fma_f64 v[116:117], v[36:37], s[2:3], v[122:123]
	v_fma_f64 v[44:45], v[36:37], s[4:5], v[44:45]
	v_add_f64 v[96:97], v[46:47], -v[66:67]
	v_fma_f64 v[72:73], v[98:99], s[4:5], v[72:73]
	v_fma_f64 v[118:119], v[98:99], s[2:3], v[126:127]
	v_add_f64 v[52:53], v[12:13], v[40:41]
	v_fma_f64 v[12:13], v[42:43], s[4:5], v[58:59]
	v_add_co_u32_e32 v58, vcc, s14, v80
	v_addc_co_u32_e32 v59, vcc, 0, v142, vcc
	v_fma_f64 v[36:37], v[48:49], s[0:1], v[116:117]
	v_fma_f64 v[48:49], v[48:49], s[0:1], v[44:45]
	;; [unrolled: 1-line block ×3, first 2 shown]
	v_add_co_u32_e32 v72, vcc, s9, v80
	v_addc_co_u32_e32 v73, vcc, 0, v142, vcc
	v_add_f64 v[136:137], v[124:125], v[96:97]
	v_fma_f64 v[138:139], v[70:71], s[6:7], v[120:121]
	v_fma_f64 v[40:41], v[134:135], s[0:1], v[118:119]
	global_load_dwordx4 v[96:99], v[58:59], off offset:32
	global_load_dwordx4 v[116:119], v[58:59], off offset:16
	global_load_dwordx4 v[120:123], v[72:73], off offset:352
	global_load_dwordx4 v[124:127], v[58:59], off offset:48
	v_mul_f64 v[128:129], v[110:111], v[94:95]
	v_mul_f64 v[130:131], v[104:105], v[90:91]
	v_add_f64 v[102:103], v[18:19], v[46:47]
	v_mul_f64 v[58:59], v[62:63], v[94:95]
	v_mul_f64 v[90:91], v[38:39], v[90:91]
	v_add_f64 v[132:133], v[50:51], -v[18:19]
	v_lshlrev_b32_e32 v80, 2, v159
	v_fma_f64 v[94:95], v[62:63], v[92:93], v[128:129]
	v_fma_f64 v[128:129], v[38:39], v[88:89], v[130:131]
	v_fma_f64 v[72:73], v[102:103], -0.5, v[4:5]
	v_add_f64 v[38:39], v[64:65], v[106:107]
	v_mul_f64 v[62:63], v[100:101], v[78:79]
	v_mul_f64 v[78:79], v[114:115], v[86:87]
	v_add_f64 v[4:5], v[4:5], v[50:51]
	v_fma_f64 v[86:87], v[92:93], v[110:111], -v[58:59]
	v_fma_f64 v[88:89], v[88:89], v[104:105], -v[90:91]
	ds_read2_b64 v[100:103], v151 offset0:112 offset1:168
	v_fma_f64 v[50:51], v[42:43], s[10:11], v[72:73]
	v_add_f64 v[90:91], v[94:95], -v[128:129]
	v_fma_f64 v[76:77], v[34:35], v[76:77], v[62:63]
	v_fma_f64 v[114:115], v[56:57], v[84:85], v[78:79]
	s_waitcnt lgkmcnt(0)
	v_fma_f64 v[92:93], v[38:39], -0.5, v[102:103]
	v_add_f64 v[34:35], v[66:67], -v[46:47]
	v_fma_f64 v[38:39], v[42:43], s[6:7], v[72:73]
	v_add_f64 v[4:5], v[18:19], v[4:5]
	v_add_f64 v[18:19], v[86:87], -v[64:65]
	v_add_f64 v[56:57], v[88:89], -v[106:107]
	v_fma_f64 v[50:51], v[70:71], s[2:3], v[50:51]
	v_add_f64 v[62:63], v[76:77], -v[114:115]
	v_fma_f64 v[58:59], v[90:91], s[6:7], v[92:93]
	v_add_f64 v[72:73], v[132:133], v[34:35]
	v_fma_f64 v[34:35], v[70:71], s[4:5], v[38:39]
	v_add_f64 v[4:5], v[4:5], v[46:47]
	;; [unrolled: 2-line block ×3, first 2 shown]
	v_add_f64 v[56:57], v[86:87], v[88:89]
	v_add_f64 v[12:13], v[76:77], v[114:115]
	;; [unrolled: 1-line block ×3, first 2 shown]
	v_fma_f64 v[46:47], v[72:73], s[0:1], v[50:51]
	v_fma_f64 v[34:35], v[72:73], s[0:1], v[34:35]
	v_add_f64 v[50:51], v[4:5], v[66:67]
	v_fma_f64 v[66:67], v[90:91], s[10:11], v[92:93]
	v_add_f64 v[92:93], v[86:87], -v[88:89]
	v_fma_f64 v[4:5], v[56:57], -0.5, v[102:103]
	v_add_f64 v[56:57], v[64:65], v[102:103]
	v_fma_f64 v[12:13], v[12:13], -0.5, v[32:33]
	v_add_f64 v[70:71], v[64:65], -v[86:87]
	v_add_f64 v[72:73], v[106:107], -v[88:89]
	;; [unrolled: 1-line block ×4, first 2 shown]
	v_fma_f64 v[84:85], v[84:85], -0.5, v[32:33]
	v_fma_f64 v[78:79], v[62:63], s[10:11], v[4:5]
	v_fma_f64 v[4:5], v[62:63], s[6:7], v[4:5]
	v_add_f64 v[56:57], v[86:87], v[56:57]
	v_add_f64 v[86:87], v[94:95], -v[76:77]
	v_fma_f64 v[104:105], v[92:93], s[10:11], v[12:13]
	v_fma_f64 v[58:59], v[62:63], s[2:3], v[58:59]
	;; [unrolled: 1-line block ×3, first 2 shown]
	v_add_f64 v[70:71], v[70:71], v[72:73]
	v_fma_f64 v[72:73], v[90:91], s[2:3], v[78:79]
	v_fma_f64 v[4:5], v[90:91], s[4:5], v[4:5]
	v_add_f64 v[56:57], v[88:89], v[56:57]
	v_add_f64 v[130:131], v[86:87], v[102:103]
	v_fma_f64 v[86:87], v[64:65], s[4:5], v[104:105]
	v_fma_f64 v[12:13], v[92:93], s[6:7], v[12:13]
	v_add_f64 v[88:89], v[76:77], -v[94:95]
	v_fma_f64 v[102:103], v[64:65], s[6:7], v[84:85]
	v_add_f64 v[32:33], v[32:33], v[76:77]
	v_add_f64 v[90:91], v[114:115], -v[128:129]
	v_fma_f64 v[66:67], v[18:19], s[0:1], v[62:63]
	v_fma_f64 v[62:63], v[70:71], s[0:1], v[72:73]
	;; [unrolled: 1-line block ×3, first 2 shown]
	v_add_f64 v[78:79], v[106:107], v[56:57]
	v_fma_f64 v[56:57], v[130:131], s[0:1], v[86:87]
	v_fma_f64 v[4:5], v[64:65], s[2:3], v[12:13]
	;; [unrolled: 1-line block ×3, first 2 shown]
	ds_read2_b64 v[84:87], v141 offset0:80 offset1:136
	s_waitcnt vmcnt(1)
	v_mul_f64 v[76:77], v[24:25], v[122:123]
	v_fma_f64 v[42:43], v[42:43], s[2:3], v[138:139]
	v_fma_f64 v[58:59], v[18:19], s[0:1], v[58:59]
	;; [unrolled: 1-line block ×3, first 2 shown]
	v_mul_f64 v[70:71], v[60:61], v[118:119]
	v_mul_f64 v[102:103], v[28:29], v[98:99]
	s_waitcnt vmcnt(0)
	v_mul_f64 v[104:105], v[54:55], v[126:127]
	v_mul_f64 v[106:107], v[108:109], v[118:119]
	s_waitcnt lgkmcnt(0)
	v_fma_f64 v[132:133], v[120:121], v[86:87], -v[76:77]
	v_lshlrev_b64 v[76:77], 4, v[80:81]
	v_add_f64 v[12:13], v[88:89], v[90:91]
	v_add_co_u32_e32 v80, vcc, s8, v76
	ds_read2_b64 v[88:91], v140 offset0:128 offset1:184
	v_fma_f64 v[118:119], v[92:93], s[2:3], v[64:65]
	v_mul_f64 v[64:65], v[86:87], v[122:123]
	v_addc_co_u32_e32 v87, vcc, v82, v77, vcc
	v_add_co_u32_e32 v76, vcc, s14, v80
	v_addc_co_u32_e32 v77, vcc, 0, v87, vcc
	v_add_co_u32_e32 v86, vcc, s9, v80
	v_addc_co_u32_e32 v87, vcc, 0, v87, vcc
	v_fma_f64 v[42:43], v[136:137], s[0:1], v[42:43]
	v_add_f64 v[32:33], v[94:95], v[32:33]
	v_fma_f64 v[94:95], v[116:117], v[108:109], -v[70:71]
	s_waitcnt lgkmcnt(0)
	v_fma_f64 v[134:135], v[96:97], v[90:91], -v[102:103]
	v_fma_f64 v[136:137], v[124:125], v[112:113], -v[104:105]
	v_fma_f64 v[138:139], v[60:61], v[116:117], v[106:107]
	v_mul_f64 v[60:61], v[90:91], v[98:99]
	v_mul_f64 v[70:71], v[112:113], v[126:127]
	global_load_dwordx4 v[90:93], v[86:87], off offset:352
	global_load_dwordx4 v[102:105], v[76:77], off offset:32
	;; [unrolled: 1-line block ×4, first 2 shown]
	v_fma_f64 v[116:117], v[24:25], v[120:121], v[64:65]
	v_add_f64 v[32:33], v[32:33], v[128:129]
	v_add_f64 v[24:25], v[94:95], v[134:135]
	v_add_f64 v[98:99], v[134:135], -v[136:137]
	v_fma_f64 v[64:65], v[130:131], s[0:1], v[4:5]
	v_fma_f64 v[86:87], v[28:29], v[96:97], v[60:61]
	v_add_f64 v[28:29], v[132:133], v[136:137]
	v_fma_f64 v[54:55], v[54:55], v[124:125], v[70:71]
	v_add_f64 v[96:97], v[94:95], -v[132:133]
	v_fma_f64 v[60:61], v[12:13], s[0:1], v[18:19]
	v_fma_f64 v[70:71], v[12:13], s[0:1], v[118:119]
	v_fma_f64 v[12:13], v[24:25], -0.5, v[100:101]
	v_add_f64 v[76:77], v[32:33], v[114:115]
	v_add_f64 v[120:121], v[138:139], -v[86:87]
	v_fma_f64 v[28:29], v[28:29], -0.5, v[100:101]
	v_add_f64 v[4:5], v[116:117], -v[54:55]
	v_add_f64 v[32:33], v[116:117], v[54:55]
	v_add_f64 v[18:19], v[96:97], v[98:99]
	v_add_f64 v[96:97], v[132:133], -v[94:95]
	v_add_f64 v[98:99], v[136:137], -v[134:135]
	v_add_f64 v[100:101], v[132:133], v[100:101]
	v_add_f64 v[130:131], v[94:95], -v[134:135]
	v_fma_f64 v[24:25], v[120:121], s[6:7], v[28:29]
	v_fma_f64 v[28:29], v[120:121], s[10:11], v[28:29]
	;; [unrolled: 1-line block ×4, first 2 shown]
	v_lshlrev_b32_e32 v80, 2, v150
	v_add_f64 v[96:97], v[96:97], v[98:99]
	v_add_f64 v[94:95], v[94:95], v[100:101]
	v_add_f64 v[100:101], v[138:139], -v[116:117]
	v_fma_f64 v[24:25], v[4:5], s[2:3], v[24:25]
	v_fma_f64 v[4:5], v[4:5], s[4:5], v[28:29]
	v_fma_f64 v[28:29], v[32:33], -0.5, v[30:31]
	v_fma_f64 v[98:99], v[120:121], s[2:3], v[114:115]
	v_fma_f64 v[114:115], v[120:121], s[4:5], v[12:13]
	v_add_f64 v[118:119], v[86:87], -v[54:55]
	v_add_f64 v[122:123], v[132:133], -v[136:137]
	v_add_f64 v[124:125], v[138:139], v[86:87]
	v_fma_f64 v[32:33], v[18:19], s[0:1], v[24:25]
	v_fma_f64 v[18:19], v[18:19], s[0:1], v[4:5]
	;; [unrolled: 1-line block ×4, first 2 shown]
	v_lshlrev_b64 v[28:29], 4, v[80:81]
	v_fma_f64 v[12:13], v[96:97], s[0:1], v[98:99]
	v_add_co_u32_e32 v80, vcc, s8, v28
	v_addc_co_u32_e32 v82, vcc, v82, v29, vcc
	v_add_co_u32_e32 v28, vcc, s9, v80
	v_addc_co_u32_e32 v29, vcc, 0, v82, vcc
	v_fma_f64 v[24:25], v[96:97], s[0:1], v[114:115]
	v_add_f64 v[4:5], v[134:135], v[94:95]
	global_load_dwordx4 v[94:97], v[28:29], off offset:352
	v_add_co_u32_e32 v28, vcc, s14, v80
	v_addc_co_u32_e32 v29, vcc, 0, v82, vcc
	v_add_f64 v[132:133], v[100:101], v[118:119]
	global_load_dwordx4 v[98:101], v[28:29], off offset:48
	v_fma_f64 v[126:127], v[122:123], s[4:5], v[120:121]
	v_add_f64 v[134:135], v[116:117], -v[138:139]
	v_add_f64 v[144:145], v[30:31], v[116:117]
	global_load_dwordx4 v[114:117], v[28:29], off offset:32
	global_load_dwordx4 v[118:121], v[28:29], off offset:16
	v_fma_f64 v[124:125], v[124:125], -0.5, v[30:31]
	v_add_f64 v[140:141], v[54:55], -v[86:87]
	v_add_f64 v[28:29], v[136:137], v[4:5]
	v_fma_f64 v[4:5], v[122:123], s[2:3], v[128:129]
	v_add_u32_e32 v80, 0x2000, v151
	v_fma_f64 v[30:31], v[132:133], s[0:1], v[126:127]
	v_add_f64 v[138:139], v[138:139], v[144:145]
	ds_read2_b64 v[126:129], v80 offset0:96 offset1:152
	v_fma_f64 v[142:143], v[122:123], s[6:7], v[124:125]
	v_add_f64 v[134:135], v[134:135], v[140:141]
	v_fma_f64 v[140:141], v[122:123], s[10:11], v[124:125]
	ds_read2_b64 v[122:125], v83 offset0:48 offset1:104
	s_waitcnt vmcnt(6)
	v_mul_f64 v[146:147], v[26:27], v[104:105]
	s_waitcnt vmcnt(5)
	v_mul_f64 v[82:83], v[16:17], v[108:109]
	;; [unrolled: 2-line block ×3, first 2 shown]
	v_mul_f64 v[104:105], v[88:89], v[104:105]
	v_fma_f64 v[136:137], v[130:131], s[4:5], v[142:143]
	v_mul_f64 v[142:143], v[22:23], v[92:93]
	v_fma_f64 v[130:131], v[130:131], s[2:3], v[140:141]
	s_waitcnt lgkmcnt(0)
	v_mul_f64 v[108:109], v[124:125], v[108:109]
	v_fma_f64 v[88:89], v[102:103], v[88:89], -v[146:147]
	v_fma_f64 v[124:125], v[106:107], v[124:125], -v[82:83]
	v_mul_f64 v[92:93], v[84:85], v[92:93]
	v_mul_f64 v[112:113], v[128:129], v[112:113]
	v_add_f64 v[86:87], v[138:139], v[86:87]
	v_fma_f64 v[140:141], v[90:91], v[84:85], -v[142:143]
	v_fma_f64 v[142:143], v[110:111], v[128:129], -v[144:145]
	v_fma_f64 v[108:109], v[16:17], v[106:107], v[108:109]
	v_fma_f64 v[104:105], v[26:27], v[102:103], v[104:105]
	ds_read2_b64 v[82:85], v151 offset1:56
	v_fma_f64 v[92:93], v[22:23], v[90:91], v[92:93]
	v_fma_f64 v[110:111], v[10:11], v[110:111], v[112:113]
	v_add_f64 v[90:91], v[124:125], v[88:89]
	v_add_f64 v[102:103], v[124:125], -v[140:141]
	v_add_f64 v[16:17], v[140:141], v[142:143]
	v_add_f64 v[106:107], v[88:89], -v[142:143]
	v_add_f64 v[112:113], v[108:109], -v[104:105]
	v_add_f64 v[26:27], v[86:87], v[54:55]
	v_fma_f64 v[10:11], v[134:135], s[0:1], v[136:137]
	v_fma_f64 v[22:23], v[134:135], s[0:1], v[130:131]
	s_waitcnt lgkmcnt(0)
	v_fma_f64 v[54:55], v[90:91], -0.5, v[84:85]
	v_add_f64 v[130:131], v[142:143], -v[88:89]
	v_fma_f64 v[128:129], v[16:17], -0.5, v[84:85]
	v_fma_f64 v[16:17], v[132:133], s[0:1], v[4:5]
	v_add_f64 v[4:5], v[92:93], -v[110:111]
	v_add_f64 v[90:91], v[102:103], v[106:107]
	v_add_f64 v[106:107], v[92:93], v[110:111]
	;; [unrolled: 1-line block ×3, first 2 shown]
	v_add_f64 v[136:137], v[124:125], -v[88:89]
	v_add_f64 v[138:139], v[108:109], v[104:105]
	v_fma_f64 v[86:87], v[112:113], s[6:7], v[128:129]
	v_fma_f64 v[102:103], v[112:113], s[10:11], v[128:129]
	v_add_f64 v[128:129], v[140:141], -v[124:125]
	v_fma_f64 v[132:133], v[4:5], s[10:11], v[54:55]
	v_fma_f64 v[54:55], v[4:5], s[6:7], v[54:55]
	v_fma_f64 v[134:135], v[106:107], -0.5, v[2:3]
	v_add_f64 v[84:85], v[124:125], v[84:85]
	v_add_f64 v[124:125], v[104:105], -v[110:111]
	v_fma_f64 v[86:87], v[4:5], s[2:3], v[86:87]
	v_fma_f64 v[4:5], v[4:5], s[4:5], v[102:103]
	v_add_f64 v[102:103], v[128:129], v[130:131]
	v_fma_f64 v[106:107], v[112:113], s[2:3], v[132:133]
	v_fma_f64 v[54:55], v[112:113], s[4:5], v[54:55]
	v_add_f64 v[112:113], v[108:109], -v[92:93]
	v_add_f64 v[128:129], v[140:141], -v[142:143]
	v_fma_f64 v[130:131], v[136:137], s[10:11], v[134:135]
	v_add_f64 v[84:85], v[88:89], v[84:85]
	v_fma_f64 v[86:87], v[90:91], s[0:1], v[86:87]
	v_fma_f64 v[4:5], v[90:91], s[0:1], v[4:5]
	;; [unrolled: 1-line block ×4, first 2 shown]
	v_add_f64 v[54:55], v[112:113], v[124:125]
	s_waitcnt vmcnt(3)
	v_mul_f64 v[112:113], v[6:7], v[96:97]
	v_fma_f64 v[88:89], v[128:129], s[4:5], v[130:131]
	v_add_f64 v[106:107], v[142:143], v[84:85]
	s_waitcnt vmcnt(2)
	v_mul_f64 v[130:131], v[8:9], v[100:101]
	v_fma_f64 v[124:125], v[136:137], s[6:7], v[134:135]
	v_add_f64 v[132:133], v[92:93], -v[108:109]
	v_add_f64 v[134:135], v[110:111], -v[104:105]
	s_waitcnt vmcnt(1)
	v_mul_f64 v[140:141], v[68:69], v[116:117]
	v_fma_f64 v[112:113], v[94:95], v[74:75], -v[112:113]
	v_fma_f64 v[84:85], v[54:55], s[0:1], v[88:89]
	s_waitcnt vmcnt(0)
	v_mul_f64 v[88:89], v[122:123], v[120:121]
	v_fma_f64 v[130:131], v[98:99], v[126:127], -v[130:131]
	v_mul_f64 v[120:121], v[14:15], v[120:121]
	v_mul_f64 v[116:117], v[20:21], v[116:117]
	v_add_f64 v[132:133], v[132:133], v[134:135]
	v_fma_f64 v[134:135], v[138:139], -0.5, v[2:3]
	v_fma_f64 v[20:21], v[20:21], v[114:115], v[140:141]
	v_mul_f64 v[74:75], v[74:75], v[96:97]
	v_fma_f64 v[14:15], v[14:15], v[118:119], v[88:89]
	v_add_f64 v[88:89], v[112:113], v[130:131]
	v_mul_f64 v[96:97], v[126:127], v[100:101]
	v_add_f64 v[2:3], v[2:3], v[92:93]
	v_fma_f64 v[92:93], v[118:119], v[122:123], -v[120:121]
	v_fma_f64 v[100:101], v[128:129], s[6:7], v[134:135]
	v_fma_f64 v[68:69], v[114:115], v[68:69], -v[116:117]
	v_fma_f64 v[6:7], v[6:7], v[94:95], v[74:75]
	v_add_f64 v[114:115], v[14:15], -v[20:21]
	v_fma_f64 v[88:89], v[88:89], -0.5, v[82:83]
	v_fma_f64 v[74:75], v[8:9], v[98:99], v[96:97]
	v_fma_f64 v[8:9], v[128:129], s[10:11], v[134:135]
	v_add_f64 v[2:3], v[108:109], v[2:3]
	v_fma_f64 v[94:95], v[136:137], s[4:5], v[100:101]
	v_add_f64 v[96:97], v[92:93], -v[112:113]
	v_add_f64 v[98:99], v[68:69], -v[130:131]
	v_fma_f64 v[124:125], v[128:129], s[2:3], v[124:125]
	v_fma_f64 v[108:109], v[114:115], s[6:7], v[88:89]
	v_add_f64 v[116:117], v[6:7], -v[74:75]
	v_add_f64 v[100:101], v[92:93], v[68:69]
	v_fma_f64 v[8:9], v[136:137], s[2:3], v[8:9]
	v_add_f64 v[104:105], v[2:3], v[104:105]
	v_fma_f64 v[118:119], v[114:115], s[10:11], v[88:89]
	v_fma_f64 v[88:89], v[132:133], s[0:1], v[94:95]
	v_add_f64 v[94:95], v[96:97], v[98:99]
	v_fma_f64 v[2:3], v[54:55], s[0:1], v[124:125]
	v_fma_f64 v[96:97], v[116:117], s[2:3], v[108:109]
	v_fma_f64 v[54:55], v[100:101], -0.5, v[82:83]
	v_fma_f64 v[100:101], v[132:133], s[0:1], v[8:9]
	v_add_f64 v[104:105], v[104:105], v[110:111]
	v_add_f64 v[108:109], v[112:113], -v[92:93]
	v_add_f64 v[110:111], v[130:131], -v[68:69]
	v_add_f64 v[120:121], v[6:7], v[74:75]
	v_add_f64 v[82:83], v[112:113], v[82:83]
	v_fma_f64 v[8:9], v[94:95], s[0:1], v[96:97]
	v_add_f64 v[96:97], v[14:15], v[20:21]
	v_fma_f64 v[98:99], v[116:117], s[4:5], v[118:119]
	v_fma_f64 v[118:119], v[116:117], s[10:11], v[54:55]
	v_fma_f64 v[54:55], v[116:117], s[6:7], v[54:55]
	v_add_f64 v[108:109], v[108:109], v[110:111]
	v_fma_f64 v[110:111], v[120:121], -0.5, v[0:1]
	v_add_f64 v[116:117], v[92:93], -v[68:69]
	v_add_f64 v[82:83], v[92:93], v[82:83]
	v_add_f64 v[92:93], v[112:113], -v[130:131]
	v_fma_f64 v[96:97], v[96:97], -0.5, v[0:1]
	v_add_f64 v[0:1], v[0:1], v[6:7]
	v_fma_f64 v[94:95], v[94:95], s[0:1], v[98:99]
	v_fma_f64 v[98:99], v[114:115], s[2:3], v[118:119]
	;; [unrolled: 1-line block ×3, first 2 shown]
	v_add_f64 v[112:113], v[14:15], -v[6:7]
	v_add_f64 v[114:115], v[20:21], -v[74:75]
	v_fma_f64 v[118:119], v[116:117], s[10:11], v[110:111]
	v_fma_f64 v[110:111], v[116:117], s[6:7], v[110:111]
	v_add_f64 v[6:7], v[6:7], -v[14:15]
	v_add_f64 v[120:121], v[74:75], -v[20:21]
	v_fma_f64 v[122:123], v[92:93], s[6:7], v[96:97]
	v_fma_f64 v[96:97], v[92:93], s[10:11], v[96:97]
	v_add_f64 v[0:1], v[14:15], v[0:1]
	v_add_f64 v[14:15], v[68:69], v[82:83]
	;; [unrolled: 1-line block ×3, first 2 shown]
	v_fma_f64 v[82:83], v[92:93], s[4:5], v[118:119]
	v_fma_f64 v[92:93], v[92:93], s[2:3], v[110:111]
	v_add_f64 v[112:113], v[6:7], v[120:121]
	v_fma_f64 v[118:119], v[116:117], s[4:5], v[122:123]
	v_fma_f64 v[116:117], v[116:117], s[2:3], v[96:97]
	v_add_f64 v[0:1], v[0:1], v[20:21]
	v_fma_f64 v[98:99], v[108:109], s[0:1], v[98:99]
	v_fma_f64 v[110:111], v[108:109], s[0:1], v[54:55]
	;; [unrolled: 1-line block ×4, first 2 shown]
	v_mov_b32_e32 v151, v81
	v_fma_f64 v[96:97], v[112:113], s[0:1], v[118:119]
	v_fma_f64 v[108:109], v[112:113], s[0:1], v[116:117]
	v_add_f64 v[112:113], v[0:1], v[74:75]
	v_mov_b32_e32 v0, s13
	v_add_co_u32_e32 v68, vcc, s12, v152
	v_addc_co_u32_e32 v69, vcc, v0, v153, vcc
	v_lshlrev_b64 v[0:1], 4, v[150:151]
	v_add_f64 v[114:115], v[130:131], v[14:15]
	v_add_co_u32_e32 v0, vcc, v68, v0
	v_addc_co_u32_e32 v1, vcc, v69, v1, vcc
	v_add_co_u32_e32 v14, vcc, s9, v0
	s_movk_i32 s8, 0x2000
	v_addc_co_u32_e32 v15, vcc, 0, v1, vcc
	v_add_co_u32_e32 v20, vcc, s8, v0
	v_addc_co_u32_e32 v21, vcc, 0, v1, vcc
	s_movk_i32 s0, 0x3000
	v_add_co_u32_e32 v54, vcc, s0, v0
	v_addc_co_u32_e32 v55, vcc, 0, v1, vcc
	s_movk_i32 s1, 0x4000
	global_store_dwordx4 v[54:55], v[6:9], off offset:1152
	v_or_b32_e32 v80, 0x380, v150
	v_add_co_u32_e32 v6, vcc, s1, v0
	v_addc_co_u32_e32 v7, vcc, 0, v1, vcc
	global_store_dwordx4 v[0:1], v[112:115], off
	global_store_dwordx4 v[14:15], v[108:111], off offset:384
	global_store_dwordx4 v[20:21], v[92:95], off offset:768
	;; [unrolled: 1-line block ×6, first 2 shown]
	s_mov_b32 s2, 0xea0ea0f
	v_lshlrev_b64 v[2:3], 4, v[80:81]
	v_or_b32_e32 v80, 0x1c0, v150
	v_add_co_u32_e32 v2, vcc, v68, v2
	v_addc_co_u32_e32 v3, vcc, v69, v3, vcc
	global_store_dwordx4 v[2:3], v[84:87], off
	global_store_dwordx4 v[6:7], v[88:91], off offset:2432
	global_store_dwordx4 v[0:1], v[26:29], off offset:1792
	global_store_dwordx4 v[14:15], v[22:25], off offset:2176
	global_store_dwordx4 v[20:21], v[16:19], off offset:2560
	global_store_dwordx4 v[54:55], v[30:33], off offset:2944
	global_store_dwordx4 v[6:7], v[10:13], off offset:3328
	global_store_dwordx4 v[0:1], v[76:79], off offset:2688
	v_lshlrev_b64 v[2:3], 4, v[80:81]
	v_mul_hi_u32 v4, v156, s2
	v_add_co_u32_e32 v2, vcc, v68, v2
	v_addc_co_u32_e32 v3, vcc, v69, v3, vcc
	s_movk_i32 s1, 0x5000
	global_store_dwordx4 v[2:3], v[70:73], off
	global_store_dwordx4 v[20:21], v[64:67], off offset:3456
	global_store_dwordx4 v[54:55], v[56:59], off offset:3840
	v_add_co_u32_e32 v2, vcc, s1, v0
	v_addc_co_u32_e32 v3, vcc, 0, v1, vcc
	global_store_dwordx4 v[2:3], v[60:63], off offset:128
	v_lshrrev_b32_e32 v2, 1, v4
	v_mul_u32_u24_e32 v80, 0x460, v2
	v_lshlrev_b64 v[2:3], 4, v[80:81]
	v_add_co_u32_e32 v0, vcc, v0, v2
	v_addc_co_u32_e32 v1, vcc, v1, v3, vcc
	v_add_co_u32_e32 v2, vcc, s9, v0
	v_addc_co_u32_e32 v3, vcc, 0, v1, vcc
	global_store_dwordx4 v[2:3], v[46:49], off offset:3968
	v_add_co_u32_e32 v2, vcc, s0, v0
	v_addc_co_u32_e32 v3, vcc, 0, v1, vcc
	global_store_dwordx4 v[2:3], v[42:45], off offset:256
	;; [unrolled: 3-line block ×4, first 2 shown]
	global_store_dwordx4 v[0:1], v[34:37], off offset:1024
.LBB0_45:
	s_endpgm
	.section	.rodata,"a",@progbits
	.p2align	6, 0x0
	.amdhsa_kernel fft_rtc_back_len1400_factors_2_2_2_5_7_5_wgs_56_tpt_56_halfLds_dp_ip_CI_unitstride_sbrr_dirReg
		.amdhsa_group_segment_fixed_size 0
		.amdhsa_private_segment_fixed_size 0
		.amdhsa_kernarg_size 88
		.amdhsa_user_sgpr_count 6
		.amdhsa_user_sgpr_private_segment_buffer 1
		.amdhsa_user_sgpr_dispatch_ptr 0
		.amdhsa_user_sgpr_queue_ptr 0
		.amdhsa_user_sgpr_kernarg_segment_ptr 1
		.amdhsa_user_sgpr_dispatch_id 0
		.amdhsa_user_sgpr_flat_scratch_init 0
		.amdhsa_user_sgpr_private_segment_size 0
		.amdhsa_uses_dynamic_stack 0
		.amdhsa_system_sgpr_private_segment_wavefront_offset 0
		.amdhsa_system_sgpr_workgroup_id_x 1
		.amdhsa_system_sgpr_workgroup_id_y 0
		.amdhsa_system_sgpr_workgroup_id_z 0
		.amdhsa_system_sgpr_workgroup_info 0
		.amdhsa_system_vgpr_workitem_id 0
		.amdhsa_next_free_vgpr 241
		.amdhsa_next_free_sgpr 28
		.amdhsa_reserve_vcc 1
		.amdhsa_reserve_flat_scratch 0
		.amdhsa_float_round_mode_32 0
		.amdhsa_float_round_mode_16_64 0
		.amdhsa_float_denorm_mode_32 3
		.amdhsa_float_denorm_mode_16_64 3
		.amdhsa_dx10_clamp 1
		.amdhsa_ieee_mode 1
		.amdhsa_fp16_overflow 0
		.amdhsa_exception_fp_ieee_invalid_op 0
		.amdhsa_exception_fp_denorm_src 0
		.amdhsa_exception_fp_ieee_div_zero 0
		.amdhsa_exception_fp_ieee_overflow 0
		.amdhsa_exception_fp_ieee_underflow 0
		.amdhsa_exception_fp_ieee_inexact 0
		.amdhsa_exception_int_div_zero 0
	.end_amdhsa_kernel
	.text
.Lfunc_end0:
	.size	fft_rtc_back_len1400_factors_2_2_2_5_7_5_wgs_56_tpt_56_halfLds_dp_ip_CI_unitstride_sbrr_dirReg, .Lfunc_end0-fft_rtc_back_len1400_factors_2_2_2_5_7_5_wgs_56_tpt_56_halfLds_dp_ip_CI_unitstride_sbrr_dirReg
                                        ; -- End function
	.section	.AMDGPU.csdata,"",@progbits
; Kernel info:
; codeLenInByte = 18660
; NumSgprs: 32
; NumVgprs: 241
; ScratchSize: 0
; MemoryBound: 1
; FloatMode: 240
; IeeeMode: 1
; LDSByteSize: 0 bytes/workgroup (compile time only)
; SGPRBlocks: 3
; VGPRBlocks: 60
; NumSGPRsForWavesPerEU: 32
; NumVGPRsForWavesPerEU: 241
; Occupancy: 1
; WaveLimiterHint : 1
; COMPUTE_PGM_RSRC2:SCRATCH_EN: 0
; COMPUTE_PGM_RSRC2:USER_SGPR: 6
; COMPUTE_PGM_RSRC2:TRAP_HANDLER: 0
; COMPUTE_PGM_RSRC2:TGID_X_EN: 1
; COMPUTE_PGM_RSRC2:TGID_Y_EN: 0
; COMPUTE_PGM_RSRC2:TGID_Z_EN: 0
; COMPUTE_PGM_RSRC2:TIDIG_COMP_CNT: 0
	.type	__hip_cuid_5a6d29c8b87789b4,@object ; @__hip_cuid_5a6d29c8b87789b4
	.section	.bss,"aw",@nobits
	.globl	__hip_cuid_5a6d29c8b87789b4
__hip_cuid_5a6d29c8b87789b4:
	.byte	0                               ; 0x0
	.size	__hip_cuid_5a6d29c8b87789b4, 1

	.ident	"AMD clang version 19.0.0git (https://github.com/RadeonOpenCompute/llvm-project roc-6.4.0 25133 c7fe45cf4b819c5991fe208aaa96edf142730f1d)"
	.section	".note.GNU-stack","",@progbits
	.addrsig
	.addrsig_sym __hip_cuid_5a6d29c8b87789b4
	.amdgpu_metadata
---
amdhsa.kernels:
  - .args:
      - .actual_access:  read_only
        .address_space:  global
        .offset:         0
        .size:           8
        .value_kind:     global_buffer
      - .offset:         8
        .size:           8
        .value_kind:     by_value
      - .actual_access:  read_only
        .address_space:  global
        .offset:         16
        .size:           8
        .value_kind:     global_buffer
      - .actual_access:  read_only
        .address_space:  global
        .offset:         24
        .size:           8
        .value_kind:     global_buffer
      - .offset:         32
        .size:           8
        .value_kind:     by_value
      - .actual_access:  read_only
        .address_space:  global
        .offset:         40
        .size:           8
        .value_kind:     global_buffer
      - .actual_access:  read_only
        .address_space:  global
        .offset:         48
        .size:           8
        .value_kind:     global_buffer
      - .offset:         56
        .size:           4
        .value_kind:     by_value
      - .actual_access:  read_only
        .address_space:  global
        .offset:         64
        .size:           8
        .value_kind:     global_buffer
      - .actual_access:  read_only
        .address_space:  global
        .offset:         72
        .size:           8
        .value_kind:     global_buffer
      - .address_space:  global
        .offset:         80
        .size:           8
        .value_kind:     global_buffer
    .group_segment_fixed_size: 0
    .kernarg_segment_align: 8
    .kernarg_segment_size: 88
    .language:       OpenCL C
    .language_version:
      - 2
      - 0
    .max_flat_workgroup_size: 56
    .name:           fft_rtc_back_len1400_factors_2_2_2_5_7_5_wgs_56_tpt_56_halfLds_dp_ip_CI_unitstride_sbrr_dirReg
    .private_segment_fixed_size: 0
    .sgpr_count:     32
    .sgpr_spill_count: 0
    .symbol:         fft_rtc_back_len1400_factors_2_2_2_5_7_5_wgs_56_tpt_56_halfLds_dp_ip_CI_unitstride_sbrr_dirReg.kd
    .uniform_work_group_size: 1
    .uses_dynamic_stack: false
    .vgpr_count:     241
    .vgpr_spill_count: 0
    .wavefront_size: 64
amdhsa.target:   amdgcn-amd-amdhsa--gfx906
amdhsa.version:
  - 1
  - 2
...

	.end_amdgpu_metadata
